;; amdgpu-corpus repo=ROCm/rocFFT kind=compiled arch=gfx1201 opt=O3
	.text
	.amdgcn_target "amdgcn-amd-amdhsa--gfx1201"
	.amdhsa_code_object_version 6
	.protected	bluestein_single_fwd_len952_dim1_half_op_CI_CI ; -- Begin function bluestein_single_fwd_len952_dim1_half_op_CI_CI
	.globl	bluestein_single_fwd_len952_dim1_half_op_CI_CI
	.p2align	8
	.type	bluestein_single_fwd_len952_dim1_half_op_CI_CI,@function
bluestein_single_fwd_len952_dim1_half_op_CI_CI: ; @bluestein_single_fwd_len952_dim1_half_op_CI_CI
; %bb.0:
	s_load_b128 s[4:7], s[0:1], 0x28
	v_mul_u32_u24_e32 v1, 0x3c4, v0
	s_mov_b32 s2, exec_lo
	s_delay_alu instid0(VALU_DEP_1) | instskip(NEXT) | instid1(VALU_DEP_1)
	v_lshrrev_b32_e32 v1, 16, v1
	v_mad_co_u64_u32 v[20:21], null, ttmp9, 3, v[1:2]
	v_mov_b32_e32 v21, 0
                                        ; kill: def $vgpr2 killed $sgpr0 killed $exec
	s_wait_kmcnt 0x0
	s_delay_alu instid0(VALU_DEP_1)
	v_cmpx_gt_u64_e64 s[4:5], v[20:21]
	s_cbranch_execz .LBB0_23
; %bb.1:
	v_mul_hi_u32 v2, 0xaaaaaaab, v20
	v_mul_lo_u16 v1, 0x44, v1
	s_clause 0x1
	s_load_b64 s[12:13], s[0:1], 0x0
	s_load_b64 s[14:15], s[0:1], 0x38
	s_delay_alu instid0(VALU_DEP_1) | instskip(NEXT) | instid1(VALU_DEP_3)
	v_sub_nc_u16 v0, v0, v1
	v_lshrrev_b32_e32 v2, 1, v2
	s_delay_alu instid0(VALU_DEP_2) | instskip(SKIP_1) | instid1(VALU_DEP_3)
	v_and_b32_e32 v44, 0xffff, v0
	v_cmp_gt_u16_e32 vcc_lo, 56, v0
	v_lshl_add_u32 v2, v2, 1, v2
	s_delay_alu instid0(VALU_DEP_3) | instskip(SKIP_1) | instid1(VALU_DEP_3)
	v_lshlrev_b32_e32 v42, 2, v44
	v_or_b32_e32 v43, 0x1c0, v44
	v_sub_nc_u32_e32 v1, v20, v2
	v_or_b32_e32 v41, 0x380, v44
	s_delay_alu instid0(VALU_DEP_2) | instskip(NEXT) | instid1(VALU_DEP_1)
	v_mul_u32_u24_e32 v31, 0x3b8, v1
	v_lshlrev_b32_e32 v45, 2, v31
	s_and_saveexec_b32 s3, vcc_lo
	s_cbranch_execz .LBB0_3
; %bb.2:
	s_load_b64 s[4:5], s[0:1], 0x18
	s_wait_kmcnt 0x0
	s_load_b128 s[8:11], s[4:5], 0x0
	s_clause 0x7
	global_load_b32 v13, v42, s[12:13]
	global_load_b32 v14, v42, s[12:13] offset:224
	global_load_b32 v15, v42, s[12:13] offset:448
	;; [unrolled: 1-line block ×7, first 2 shown]
	s_wait_kmcnt 0x0
	v_mad_co_u64_u32 v[0:1], null, s10, v20, 0
	v_mad_co_u64_u32 v[2:3], null, s8, v44, 0
	v_mad_co_u64_u32 v[6:7], null, s8, v41, 0
	v_mad_co_u64_u32 v[4:5], null, s8, v43, 0
	s_mul_u64 s[4:5], s[8:9], 0xe0
	s_delay_alu instid0(VALU_DEP_3) | instskip(NEXT) | instid1(VALU_DEP_3)
	v_mad_co_u64_u32 v[8:9], null, s11, v20, v[1:2]
	v_mov_b32_e32 v1, v7
	s_delay_alu instid0(VALU_DEP_3) | instskip(NEXT) | instid1(VALU_DEP_4)
	v_mad_co_u64_u32 v[9:10], null, s9, v44, v[3:4]
	v_mad_co_u64_u32 v[10:11], null, s9, v43, v[5:6]
	s_delay_alu instid0(VALU_DEP_3)
	v_mad_co_u64_u32 v[11:12], null, s9, v41, v[1:2]
	v_mov_b32_e32 v1, v8
	s_clause 0x8
	global_load_b32 v12, v42, s[12:13] offset:1792
	global_load_b32 v22, v42, s[12:13] offset:2016
	global_load_b32 v23, v42, s[12:13] offset:2240
	global_load_b32 v24, v42, s[12:13] offset:2464
	global_load_b32 v25, v42, s[12:13] offset:2688
	global_load_b32 v26, v42, s[12:13] offset:2912
	global_load_b32 v27, v42, s[12:13] offset:3136
	global_load_b32 v28, v42, s[12:13] offset:3360
	global_load_b32 v29, v42, s[12:13] offset:3584
	v_mov_b32_e32 v3, v9
	v_mov_b32_e32 v5, v10
	v_lshlrev_b64_e32 v[0:1], 2, v[0:1]
	v_mov_b32_e32 v7, v11
	s_delay_alu instid0(VALU_DEP_4) | instskip(NEXT) | instid1(VALU_DEP_4)
	v_lshlrev_b64_e32 v[2:3], 2, v[2:3]
	v_lshlrev_b64_e32 v[4:5], 2, v[4:5]
	s_delay_alu instid0(VALU_DEP_4) | instskip(NEXT) | instid1(VALU_DEP_1)
	v_add_co_u32 v8, s2, s6, v0
	v_add_co_ci_u32_e64 v9, s2, s7, v1, s2
	v_lshlrev_b64_e32 v[0:1], 2, v[6:7]
	s_delay_alu instid0(VALU_DEP_3) | instskip(SKIP_1) | instid1(VALU_DEP_3)
	v_add_co_u32 v2, s2, v8, v2
	s_wait_alu 0xf1ff
	v_add_co_ci_u32_e64 v3, s2, v9, v3, s2
	v_add_co_u32 v4, s2, v8, v4
	s_wait_alu 0xf1ff
	v_add_co_ci_u32_e64 v5, s2, v9, v5, s2
	v_add_co_u32 v0, s2, v8, v0
	s_wait_alu 0xf1ff
	v_add_co_ci_u32_e64 v1, s2, v9, v1, s2
	s_clause 0x2
	global_load_b32 v10, v[2:3], off
	global_load_b32 v11, v[4:5], off
	;; [unrolled: 1-line block ×3, first 2 shown]
	s_wait_alu 0xfffe
	v_add_co_u32 v2, s2, v2, s4
	s_wait_alu 0xf1ff
	v_add_co_ci_u32_e64 v3, s2, s5, v3, s2
	s_delay_alu instid0(VALU_DEP_2) | instskip(SKIP_1) | instid1(VALU_DEP_2)
	v_add_co_u32 v4, s2, v2, s4
	s_wait_alu 0xf1ff
	v_add_co_ci_u32_e64 v5, s2, s5, v3, s2
	global_load_b32 v32, v[2:3], off
	v_add_co_u32 v0, s2, v4, s4
	global_load_b32 v33, v[4:5], off
	s_wait_alu 0xf1ff
	v_add_co_ci_u32_e64 v1, s2, s5, v5, s2
	global_load_b32 v34, v[0:1], off
	v_add_co_u32 v2, s2, v0, s4
	s_wait_alu 0xf1ff
	v_add_co_ci_u32_e64 v3, s2, s5, v1, s2
	s_delay_alu instid0(VALU_DEP_2) | instskip(SKIP_1) | instid1(VALU_DEP_2)
	v_add_co_u32 v6, s2, v2, s4
	s_wait_alu 0xf1ff
	v_add_co_ci_u32_e64 v7, s2, s5, v3, s2
	global_load_b32 v35, v[2:3], off
	v_add_co_u32 v4, s2, v6, s4
	s_wait_alu 0xf1ff
	v_add_co_ci_u32_e64 v5, s2, s5, v7, s2
	s_delay_alu instid0(VALU_DEP_2) | instskip(SKIP_1) | instid1(VALU_DEP_2)
	v_add_co_u32 v0, s2, v4, s4
	s_wait_alu 0xf1ff
	v_add_co_ci_u32_e64 v1, s2, s5, v5, s2
	global_load_b32 v6, v[6:7], off
	global_load_b32 v4, v[4:5], off
	v_mad_co_u64_u32 v[8:9], null, 0x1c0, s8, v[0:1]
	global_load_b32 v5, v[0:1], off
	v_mov_b32_e32 v2, v9
	v_add_co_u32 v0, s2, v8, s4
	s_delay_alu instid0(VALU_DEP_2) | instskip(NEXT) | instid1(VALU_DEP_1)
	v_mad_co_u64_u32 v[2:3], null, 0x1c0, s9, v[2:3]
	v_mov_b32_e32 v9, v2
	s_wait_alu 0xf1ff
	s_delay_alu instid0(VALU_DEP_1)
	v_add_co_ci_u32_e64 v1, s2, s5, v9, s2
	v_add_co_u32 v2, s2, v0, s4
	global_load_b32 v7, v[8:9], off
	s_wait_alu 0xf1ff
	v_add_co_ci_u32_e64 v3, s2, s5, v1, s2
	global_load_b32 v8, v[0:1], off
	v_add_co_u32 v0, s2, v2, s4
	s_wait_alu 0xf1ff
	v_add_co_ci_u32_e64 v1, s2, s5, v3, s2
	global_load_b32 v9, v[2:3], off
	v_add_co_u32 v2, s2, v0, s4
	;; [unrolled: 4-line block ×4, first 2 shown]
	s_wait_alu 0xf1ff
	v_add_co_ci_u32_e64 v3, s2, s5, v1, s2
	global_load_b32 v0, v[0:1], off
	global_load_b32 v1, v[2:3], off
	v_lshl_add_u32 v3, v44, 2, v45
	v_add_nc_u32_e32 v2, v45, v42
	s_delay_alu instid0(VALU_DEP_1)
	v_add_nc_u32_e32 v38, 0x400, v2
	v_add_nc_u32_e32 v39, 0x600, v2
	;; [unrolled: 1-line block ×4, first 2 shown]
	s_wait_loadcnt 0x21
	v_lshrrev_b32_e32 v47, 16, v13
	s_wait_loadcnt 0x20
	v_lshrrev_b32_e32 v48, 16, v14
	;; [unrolled: 2-line block ×18, first 2 shown]
	v_mul_f16_e32 v65, v47, v10
	s_wait_loadcnt 0xf
	v_lshrrev_b32_e32 v66, 16, v11
	s_wait_loadcnt 0xe
	v_lshrrev_b32_e32 v68, 16, v30
	v_mul_f16_e32 v67, v55, v11
	v_mul_f16_e32 v47, v47, v64
	v_fma_f16 v64, v13, v64, -v65
	v_mul_f16_e32 v69, v63, v30
	v_mul_f16_e32 v55, v55, v66
	;; [unrolled: 1-line block ×3, first 2 shown]
	v_fmac_f16_e32 v47, v13, v10
	v_fma_f16 v66, v12, v66, -v67
	v_fma_f16 v67, v29, v68, -v69
	s_wait_loadcnt 0xd
	v_lshrrev_b32_e32 v65, 16, v32
	v_mul_f16_e32 v70, v48, v32
	v_fmac_f16_e32 v55, v12, v11
	v_fmac_f16_e32 v63, v29, v30
	v_pack_b32_f16 v11, v47, v64
	v_mul_f16_e32 v10, v48, v65
	v_fma_f16 v13, v14, v65, -v70
	s_wait_loadcnt 0xc
	v_lshrrev_b32_e32 v48, 16, v33
	v_mul_f16_e32 v65, v49, v33
	s_wait_loadcnt 0xb
	v_lshrrev_b32_e32 v29, 16, v34
	v_fmac_f16_e32 v10, v14, v32
	v_mul_f16_e32 v30, v50, v34
	v_mul_f16_e32 v12, v49, v48
	ds_store_b32 v3, v11
	v_fma_f16 v14, v15, v48, -v65
	v_pack_b32_f16 v3, v10, v13
	v_mul_f16_e32 v10, v50, v29
	v_fmac_f16_e32 v12, v15, v33
	v_fma_f16 v15, v16, v29, -v30
	s_wait_loadcnt 0xa
	v_lshrrev_b32_e32 v11, 16, v35
	v_mul_f16_e32 v13, v51, v35
	v_fmac_f16_e32 v10, v16, v34
	v_pack_b32_f16 v12, v12, v14
	v_pack_b32_f16 v32, v55, v66
	v_mul_f16_e32 v14, v51, v11
	v_fma_f16 v11, v17, v11, -v13
	v_pack_b32_f16 v10, v10, v15
	ds_store_2addr_b32 v2, v3, v12 offset0:56 offset1:112
	s_wait_loadcnt 0x9
	v_lshrrev_b32_e32 v13, 16, v6
	v_mul_f16_e32 v16, v52, v6
	s_wait_loadcnt 0x8
	v_lshrrev_b32_e32 v15, 16, v4
	v_fmac_f16_e32 v14, v17, v35
	v_mul_f16_e32 v29, v53, v4
	v_mul_f16_e32 v17, v52, v13
	v_fma_f16 v13, v18, v13, -v16
	v_mul_f16_e32 v16, v53, v15
	s_wait_loadcnt 0x7
	v_lshrrev_b32_e32 v30, 16, v5
	v_pack_b32_f16 v11, v14, v11
	v_fmac_f16_e32 v17, v18, v6
	v_fma_f16 v6, v19, v15, -v29
	v_mul_f16_e32 v15, v54, v5
	v_fmac_f16_e32 v16, v19, v4
	v_mul_f16_e32 v4, v54, v30
	v_pack_b32_f16 v13, v17, v13
	v_pack_b32_f16 v47, v63, v67
	v_fma_f16 v14, v21, v30, -v15
	v_pack_b32_f16 v6, v16, v6
	v_fmac_f16_e32 v4, v21, v5
	ds_store_2addr_b32 v2, v10, v11 offset0:168 offset1:224
	ds_store_2addr_b32 v38, v13, v6 offset0:24 offset1:80
	v_add_nc_u32_e32 v2, 0xc00, v2
	v_pack_b32_f16 v4, v4, v14
	ds_store_2addr_b32 v38, v4, v32 offset0:136 offset1:192
	s_wait_loadcnt 0x6
	v_lshrrev_b32_e32 v3, 16, v7
	v_mul_f16_e32 v5, v56, v7
	s_wait_loadcnt 0x5
	v_lshrrev_b32_e32 v10, 16, v8
	v_mul_f16_e32 v11, v57, v8
	v_mul_f16_e32 v6, v56, v3
	v_fma_f16 v3, v22, v3, -v5
	s_delay_alu instid0(VALU_DEP_4) | instskip(NEXT) | instid1(VALU_DEP_4)
	v_mul_f16_e32 v4, v57, v10
	v_fma_f16 v5, v23, v10, -v11
	s_delay_alu instid0(VALU_DEP_4)
	v_fmac_f16_e32 v6, v22, v7
	s_wait_loadcnt 0x4
	v_lshrrev_b32_e32 v7, 16, v9
	v_mul_f16_e32 v10, v58, v9
	v_fmac_f16_e32 v4, v23, v8
	v_pack_b32_f16 v3, v6, v3
	s_wait_loadcnt 0x3
	v_lshrrev_b32_e32 v6, 16, v36
	v_mul_f16_e32 v8, v58, v7
	v_fma_f16 v7, v24, v7, -v10
	v_mul_f16_e32 v10, v59, v36
	v_pack_b32_f16 v4, v4, v5
	v_mul_f16_e32 v5, v59, v6
	v_fmac_f16_e32 v8, v24, v9
	s_wait_loadcnt 0x2
	v_lshrrev_b32_e32 v9, 16, v37
	v_fma_f16 v6, v25, v6, -v10
	v_mul_f16_e32 v10, v60, v37
	s_wait_loadcnt 0x1
	v_lshrrev_b32_e32 v11, 16, v0
	s_wait_loadcnt 0x0
	v_lshrrev_b32_e32 v13, 16, v1
	v_mul_f16_e32 v12, v60, v9
	v_mul_f16_e32 v15, v62, v1
	v_fma_f16 v9, v26, v9, -v10
	v_mul_f16_e32 v10, v61, v0
	v_mul_f16_e32 v14, v61, v11
	;; [unrolled: 1-line block ×3, first 2 shown]
	v_fmac_f16_e32 v5, v25, v36
	v_fmac_f16_e32 v12, v26, v37
	v_fma_f16 v10, v27, v11, -v10
	v_fmac_f16_e32 v14, v27, v0
	v_fma_f16 v0, v28, v13, -v15
	v_fmac_f16_e32 v16, v28, v1
	v_pack_b32_f16 v1, v8, v7
	v_pack_b32_f16 v5, v5, v6
	;; [unrolled: 1-line block ×5, first 2 shown]
	ds_store_2addr_b32 v39, v3, v4 offset0:120 offset1:176
	ds_store_2addr_b32 v40, v1, v5 offset0:104 offset1:160
	;; [unrolled: 1-line block ×4, first 2 shown]
.LBB0_3:
	s_or_b32 exec_lo, exec_lo, s3
	v_mov_b32_e32 v8, 0
	global_wb scope:SCOPE_SE
	s_wait_dscnt 0x0
	s_wait_kmcnt 0x0
	s_barrier_signal -1
	s_barrier_wait -1
	global_inv scope:SCOPE_SE
                                        ; implicit-def: $vgpr21
                                        ; implicit-def: $vgpr5
                                        ; implicit-def: $vgpr7
                                        ; implicit-def: $vgpr11
                                        ; implicit-def: $vgpr13
                                        ; implicit-def: $vgpr15
                                        ; implicit-def: $vgpr19
                                        ; implicit-def: $vgpr17
                                        ; implicit-def: $vgpr64
	s_and_saveexec_b32 s2, vcc_lo
	s_cbranch_execz .LBB0_5
; %bb.4:
	v_lshl_add_u32 v0, v31, 2, v42
	s_delay_alu instid0(VALU_DEP_1)
	v_add_nc_u32_e32 v1, 0x200, v0
	v_add_nc_u32_e32 v2, 0x400, v0
	;; [unrolled: 1-line block ×4, first 2 shown]
	ds_load_2addr_b32 v[8:9], v0 offset1:56
	ds_load_2addr_b32 v[16:17], v0 offset0:112 offset1:168
	ds_load_2addr_b32 v[18:19], v1 offset0:96 offset1:152
	;; [unrolled: 1-line block ×7, first 2 shown]
	ds_load_b32 v21, v0 offset:3584
	s_wait_dscnt 0x7
	v_alignbit_b32 v64, v16, v16, 16
.LBB0_5:
	s_wait_alu 0xfffe
	s_or_b32 exec_lo, exec_lo, s2
	s_wait_dscnt 0x0
	v_pk_add_f16 v16, v9, v21 neg_lo:[0,1] neg_hi:[0,1]
	v_pk_add_f16 v25, v64, v5 op_sel:[1,0] op_sel_hi:[0,1] neg_lo:[0,1] neg_hi:[0,1]
	v_pk_add_f16 v24, v21, v9
	v_pk_add_f16 v23, v5, v64 op_sel:[1,0] op_sel_hi:[0,1]
	v_pk_add_f16 v26, v17, v4 neg_lo:[0,1] neg_hi:[0,1]
	v_lshrrev_b32_e32 v95, 16, v16
	v_lshrrev_b32_e32 v94, 16, v25
	v_pk_add_f16 v27, v4, v17
	v_lshrrev_b32_e32 v73, 16, v23
	v_lshrrev_b32_e32 v105, 16, v26
	v_mul_f16_e32 v57, 0xbbf7, v95
	v_mul_f16_e32 v61, 0xb1e1, v94
	;; [unrolled: 1-line block ×5, first 2 shown]
	v_fmamk_f16 v1, v24, 0x2de8, v57
	v_fmamk_f16 v28, v73, 0xbbdd, v61
	;; [unrolled: 1-line block ×4, first 2 shown]
	v_mul_f16_e32 v71, 0x3836, v94
	v_add_f16_e32 v1, v1, v8
	v_fmamk_f16 v3, v73, 0xb8d2, v52
	v_add_f16_e32 v0, v0, v8
	v_add_f16_e32 v2, v2, v8
	v_fmamk_f16 v29, v73, 0xbacd, v71
	v_add_f16_e32 v1, v28, v1
	v_pk_add_f16 v28, v18, v7 neg_lo:[0,1] neg_hi:[0,1]
	v_mul_f16_e32 v59, 0x31e1, v105
	v_add_f16_e32 v0, v3, v0
	v_add_f16_e32 v2, v29, v2
	v_mul_f16_e32 v65, 0x3bb2, v105
	v_lshrrev_b32_e32 v116, 16, v28
	v_pk_add_f16 v29, v7, v18
	v_fmamk_f16 v3, v27, 0xbbdd, v59
	v_pk_add_f16 v37, v19, v6 neg_lo:[0,1] neg_hi:[0,1]
	v_fmamk_f16 v34, v27, 0xb461, v65
	v_mul_f16_e32 v60, 0x3bb2, v116
	v_mul_f16_e32 v67, 0x35c8, v116
	v_add_f16_e32 v0, v3, v0
	v_lshrrev_b32_e32 v123, 16, v37
	v_pk_add_f16 v46, v14, v11 neg_lo:[0,1] neg_hi:[0,1]
	v_fmamk_f16 v3, v29, 0xb461, v60
	v_mul_f16_e32 v76, 0x3964, v105
	v_add_f16_e32 v1, v34, v1
	v_pk_add_f16 v39, v6, v19
	v_mul_f16_e32 v62, 0x3964, v123
	v_add_f16_e32 v0, v3, v0
	v_fmamk_f16 v3, v29, 0x3b76, v67
	v_lshrrev_b32_e32 v126, 16, v46
	v_fmamk_f16 v35, v27, 0x39e9, v76
	v_mul_f16_e32 v78, 0xbb29, v116
	v_pk_add_f16 v49, v11, v14
	v_add_f16_e32 v1, v3, v1
	v_fmamk_f16 v3, v39, 0x39e9, v62
	v_mul_f16_e32 v63, 0xb5c8, v126
	v_pk_mul_f16 v22, 0x3b7639e9, v24
	v_add_f16_e32 v2, v35, v2
	v_fmamk_f16 v34, v29, 0x3722, v78
	v_mul_f16_e32 v74, 0xbb29, v123
	v_add_f16_e32 v0, v3, v0
	v_fmamk_f16 v53, v49, 0x3b76, v63
	v_pk_mul_f16 v32, 0xbbf7b964, v25
	v_pk_fma_f16 v30, 0xb964b5c8, v16, v22 op_sel:[0,0,1] op_sel_hi:[1,1,0]
	v_add_f16_e32 v2, v34, v2
	v_mul_f16_e32 v81, 0xb1e1, v123
	v_fmamk_f16 v34, v39, 0x3722, v74
	v_add_f16_e32 v0, v53, v0
	v_pk_add_f16 v53, v15, v10 neg_lo:[0,1] neg_hi:[0,1]
	v_pk_fma_f16 v36, 0x2de839e9, v23, v32
	v_pk_mul_f16 v33, 0x3722b8d2, v27
	v_fmamk_f16 v3, v39, 0xbbdd, v81
	v_add_f16_e32 v1, v34, v1
	v_lshrrev_b32_e32 v34, 16, v30
	v_mul_f16_e32 v80, 0xb836, v126
	v_lshrrev_b32_e32 v138, 16, v53
	v_pk_fma_f16 v40, 0xba62bb29, v26, v33 op_sel:[0,0,1] op_sel_hi:[1,1,0]
	v_pk_mul_f16 v47, 0x2de8bbdd, v29
	v_add_f16_e32 v2, v3, v2
	v_add_f16_e32 v3, v34, v8
	v_lshrrev_b32_e32 v34, 16, v36
	v_pk_add_f16 v55, v10, v15
	v_fmamk_f16 v56, v49, 0xbacd, v80
	v_mul_f16_e64 v72, 0xbbf7, v138
	v_pk_fma_f16 v50, 0xb1e1bbf7, v28, v47 op_sel:[0,0,1] op_sel_hi:[1,1,0]
	v_pk_mul_f16 v35, 0xb461bacd, v39
	v_mul_f16_e32 v97, 0x3bf7, v126
	v_add_f16_e32 v3, v34, v3
	v_lshrrev_b32_e32 v34, 16, v40
	v_add_f16_e32 v1, v56, v1
	v_fmamk_f16 v56, v55, 0x2de8, v72
	v_pk_fma_f16 v54, 0x3836bbb2, v37, v35 op_sel:[0,0,1] op_sel_hi:[1,1,0]
	v_pk_mul_f16 v48, 0xb8d2b461, v49
	v_fmamk_f16 v58, v49, 0x2de8, v97
	v_add_f16_e32 v3, v34, v3
	v_lshrrev_b32_e32 v34, 16, v50
	v_add_f16_e32 v0, v56, v0
	v_pk_add_f16 v56, v12, v13 neg_lo:[0,1] neg_hi:[0,1]
	v_pk_fma_f16 v66, 0x3bb2ba62, v46, v48 op_sel:[0,0,1] op_sel_hi:[1,1,0]
	v_pk_mul_f16 v112, 0xbacd3722, v55
	v_add_f16_e32 v2, v58, v2
	v_add_f16_e32 v3, v34, v3
	v_lshrrev_b32_e32 v34, 16, v54
	v_mul_f16_e64 v82, 0x3a62, v138
	v_pk_add_f16 v58, v13, v12
	v_lshrrev_b32_e32 v143, 16, v56
	v_pk_fma_f16 v69, 0x3b29b836, v53, v112 op_sel:[0,0,1] op_sel_hi:[1,1,0]
	v_add_f16_e32 v3, v34, v3
	v_lshrrev_b32_e32 v34, 16, v66
	v_fmamk_f16 v77, v55, 0xb8d2, v82
	v_pk_mul_f16 v115, 0xbbdd3b76, v58
	v_mul_f16_e64 v101, 0xb5c8, v138
	v_mul_f16_e64 v75, 0xb836, v143
	v_mul_f16_e32 v38, 0xb5c8, v95
	v_add_f16_e32 v3, v34, v3
	v_lshrrev_b32_e32 v34, 16, v69
	v_pk_fma_f16 v70, 0x35c8b1e1, v56, v115 op_sel:[0,0,1] op_sel_hi:[1,1,0]
	v_add_f16_e32 v1, v77, v1
	v_fmamk_f16 v77, v55, 0x3b76, v101
	v_fmamk_f16 v79, v58, 0xbacd, v75
	v_add_f16_e32 v3, v34, v3
	v_lshrrev_b32_e32 v34, 16, v70
	v_mul_f16_e64 v85, 0x3964, v143
	v_mul_f16_e64 v102, 0xba62, v143
	v_add_f16_e32 v83, v77, v2
	v_add_f16_e32 v2, v79, v0
	v_fmamk_f16 v79, v24, 0x3b76, v38
	v_lshrrev_b32_e32 v135, 16, v24
	v_mul_f16_e32 v87, 0xb964, v16
	v_mul_f16_e32 v77, 0xb964, v94
	v_add_f16_e32 v3, v34, v3
	v_fmamk_f16 v0, v58, 0x39e9, v85
	v_fmamk_f16 v34, v58, 0xb8d2, v102
	v_add_f16_e32 v79, v79, v8
	v_lshrrev_b32_e32 v86, 16, v8
	v_fma_f16 v84, v135, 0x39e9, -v87
	v_mul_f16_e32 v88, 0xbbf7, v25
	v_fmamk_f16 v89, v73, 0x39e9, v77
	v_mul_f16_e32 v98, 0xbb29, v16
	v_mul_f16_e32 v118, 0xbbf7, v16
	v_mul_f16_e64 v130, 0xbbb2, v16
	v_add_f16_e32 v1, v0, v1
	v_add_f16_e32 v0, v34, v83
	;; [unrolled: 1-line block ×3, first 2 shown]
	v_fma_f16 v83, v23, 0x2de8, -v88
	v_add_f16_e32 v89, v89, v79
	v_fma_f16 v79, v135, 0x3722, -v98
	v_mul_f16_e32 v99, 0xba62, v25
	v_fma_f16 v84, v135, 0x2de8, -v118
	v_mul_f16_e32 v120, 0xb1e1, v25
	v_fma_f16 v90, v135, 0xb461, -v130
	v_mul_f16_e64 v131, 0x3836, v25
	v_add_f16_e32 v34, v83, v34
	v_add_f16_e32 v79, v79, v86
	v_fma_f16 v83, v23, 0xb8d2, -v99
	v_add_f16_e32 v91, v84, v86
	v_fma_f16 v92, v23, 0xbbdd, -v120
	;; [unrolled: 2-line block ×3, first 2 shown]
	v_lshrrev_b32_e32 v136, 16, v27
	v_mul_f16_e32 v84, 0xba62, v26
	v_mul_f16_e32 v107, 0x31e1, v26
	v_add_f16_e32 v83, v83, v79
	v_mul_f16_e32 v79, 0xbb29, v105
	v_add_f16_e32 v91, v92, v91
	v_add_f16_e32 v92, v93, v90
	v_fma_f16 v93, v136, 0xb8d2, -v84
	v_fma_f16 v96, v136, 0xbbdd, -v107
	v_mul_f16_e32 v124, 0x3bb2, v26
	v_mul_f16_e64 v139, 0x3964, v26
	v_fmamk_f16 v90, v27, 0x3722, v79
	v_add_f16_e32 v34, v93, v34
	v_add_f16_e32 v93, v96, v83
	v_fma_f16 v96, v136, 0xb461, -v124
	v_fma_f16 v100, v136, 0x39e9, -v139
	v_mul_f16_e32 v83, 0xbbf7, v116
	v_lshrrev_b32_e32 v133, 16, v29
	v_mul_f16_e32 v114, 0x3bb2, v28
	v_add_f16_e32 v89, v90, v89
	v_mul_f16_e32 v90, 0xb1e1, v28
	v_add_f16_e32 v91, v96, v91
	v_add_f16_e32 v96, v100, v92
	v_fmamk_f16 v92, v29, 0x2de8, v83
	v_fma_f16 v103, v133, 0xb461, -v114
	v_mul_f16_e64 v140, 0xbb29, v28
	v_fma_f16 v100, v133, 0xbbdd, -v90
	v_mul_f16_e32 v125, 0x35c8, v28
	v_add_f16_e32 v104, v92, v89
	v_add_f16_e32 v93, v103, v93
	v_fma_f16 v103, v133, 0x3722, -v140
	v_lshrrev_b32_e32 v134, 16, v39
	v_mul_f16_e32 v92, 0x3836, v37
	v_add_f16_e32 v34, v100, v34
	v_fma_f16 v100, v133, 0x3b76, -v125
	v_mul_f16_e32 v89, 0xbbb2, v123
	v_mul_f16_e32 v117, 0x3964, v37
	v_add_f16_e32 v103, v103, v96
	v_fma_f16 v96, v134, 0xbacd, -v92
	v_mul_f16_e64 v144, 0xb1e1, v37
	v_add_f16_e32 v100, v100, v91
	v_fmamk_f16 v91, v39, 0xb461, v89
	v_fma_f16 v106, v134, 0x39e9, -v117
	v_mul_f16_e32 v127, 0xbb29, v37
	v_add_f16_e32 v34, v96, v34
	v_fma_f16 v108, v134, 0xbbdd, -v144
	v_lshrrev_b32_e32 v137, 16, v49
	v_mul_f16_e32 v96, 0x3bb2, v46
	v_mul_f16_e32 v119, 0xb5c8, v46
	v_add_f16_e32 v104, v91, v104
	v_add_f16_e32 v93, v106, v93
	v_fma_f16 v106, v134, 0x3722, -v127
	v_mul_f16_e32 v91, 0xba62, v126
	v_add_f16_e32 v103, v108, v103
	v_fma_f16 v108, v137, 0xb461, -v96
	v_fma_f16 v109, v137, 0x3b76, -v119
	v_mul_f16_e64 v146, 0x3bf7, v46
	v_add_f16_e32 v106, v106, v100
	v_fmamk_f16 v100, v49, 0xb8d2, v91
	v_mul_f16_e64 v128, 0xb836, v46
	v_add_f16_e32 v34, v108, v34
	v_add_f16_e32 v108, v109, v93
	v_mul_f16_e64 v93, 0xb836, v138
	v_fma_f16 v110, v137, 0x2de8, -v146
	v_add_f16_e32 v104, v100, v104
	v_fma_f16 v109, v137, 0xbacd, -v128
	v_lshrrev_b32_e32 v141, 16, v55
	v_mul_f16_e32 v100, 0x3b29, v53
	v_mul_f16_e32 v122, 0xbbf7, v53
	v_fmamk_f16 v111, v55, 0xbacd, v93
	v_add_f16_e32 v110, v110, v103
	v_pk_fma_f16 v103, 0xb964b5c8, v16, v22 op_sel:[0,0,1] op_sel_hi:[1,1,0] neg_lo:[0,1,0] neg_hi:[0,1,0]
	v_add_f16_e32 v109, v109, v106
	v_fma_f16 v106, v141, 0x3722, -v100
	v_fma_f16 v113, v141, 0x2de8, -v122
	v_add_f16_e64 v129, v111, v104
	v_mul_f16_e64 v132, 0x3a62, v53
	v_pk_fma_f16 v104, 0x2de839e9, v23, v32 neg_lo:[0,0,1] neg_hi:[0,0,1]
	v_add_f16_e32 v32, v103, v86
	v_add_f16_e32 v22, v106, v34
	;; [unrolled: 1-line block ×3, first 2 shown]
	v_fma_f16 v108, v141, 0xb8d2, -v132
	v_pk_fma_f16 v106, 0xba62bb29, v26, v33 op_sel:[0,0,1] op_sel_hi:[1,1,0] neg_lo:[0,1,0] neg_hi:[0,1,0]
	v_add_f16_e32 v32, v104, v32
	v_mul_f16_e64 v147, 0xb5c8, v53
	v_lshrrev_b32_e32 v145, 16, v58
	v_add_f16_e64 v149, v108, v109
	v_pk_fma_f16 v108, 0xb1e1bbf7, v28, v47 op_sel:[0,0,1] op_sel_hi:[1,1,0] neg_lo:[0,1,0] neg_hi:[0,1,0]
	v_add_f16_e32 v32, v106, v32
	v_fma_f16 v33, v141, 0x3b76, -v147
	v_pk_fma_f16 v109, 0x3836bbb2, v37, v35 op_sel:[0,0,1] op_sel_hi:[1,1,0] neg_lo:[0,1,0] neg_hi:[0,1,0]
	v_mul_f16_e32 v111, 0x35c8, v56
	s_clause 0x1
	s_load_b64 s[4:5], s[0:1], 0x20
	s_load_b64 s[2:3], s[0:1], 0x8
	v_add_f16_e32 v32, v108, v32
	v_add_f16_e64 v150, v33, v110
	v_pk_fma_f16 v110, 0x3bb2ba62, v46, v48 op_sel:[0,0,1] op_sel_hi:[1,1,0] neg_lo:[0,1,0] neg_hi:[0,1,0]
	v_fma_f16 v47, v145, 0x3b76, -v111
	v_mul_f16_e32 v121, 0xb836, v56
	v_add_f16_e32 v32, v109, v32
	v_mul_f16_e64 v142, 0x3964, v56
	v_mul_f16_e64 v148, 0xba62, v56
	v_pk_fma_f16 v112, 0x3b29b836, v53, v112 op_sel:[0,0,1] op_sel_hi:[1,1,0] neg_lo:[0,1,0] neg_hi:[0,1,0]
	v_mul_f16_e64 v113, 0xb1e1, v143
	v_add_f16_e32 v32, v110, v32
	v_add_f16_e32 v33, v47, v22
	v_fma_f16 v22, v145, 0xbacd, -v121
	v_fma_f16 v35, v145, 0x39e9, -v142
	;; [unrolled: 1-line block ×3, first 2 shown]
	v_pk_fma_f16 v115, 0x35c8b1e1, v56, v115 op_sel:[0,0,1] op_sel_hi:[1,1,0] neg_lo:[0,1,0] neg_hi:[0,1,0]
	v_fmamk_f16 v48, v58, 0xbbdd, v113
	v_add_f16_e64 v151, v112, v32
	v_add_f16_e32 v34, v22, v34
	v_add_f16_e64 v35, v35, v149
	v_add_f16_e64 v32, v47, v150
	;; [unrolled: 1-line block ×4, first 2 shown]
	v_mul_lo_u16 v47, v44, 17
	global_wb scope:SCOPE_SE
	s_wait_kmcnt 0x0
	s_barrier_signal -1
	s_barrier_wait -1
	global_inv scope:SCOPE_SE
	s_and_saveexec_b32 s0, vcc_lo
	s_cbranch_execz .LBB0_7
; %bb.6:
	v_mul_f16_e64 v149, 0xb8d2, v135
	v_mul_f16_e64 v150, 0xb461, v23
	;; [unrolled: 1-line block ×5, first 2 shown]
	v_fma_f16 v129, 0x3a62, v16, v149
	v_fma_f16 v156, 0xbbb2, v25, v150
	;; [unrolled: 1-line block ×3, first 2 shown]
	v_mul_f16_e64 v152, 0xbacd, v133
	v_mul_f16_e64 v158, 0xb5c8, v105
	v_add_f16_e64 v129, v129, v86
	v_fma_f16 v159, 0x35c8, v26, v151
	v_fma_f16 v160, 0xb461, v73, v155
	v_add_f16_e64 v157, v157, v8
	v_mul_f16_e64 v154, 0x2de8, v134
	v_add_f16_e64 v129, v156, v129
	v_mul_f16_e64 v156, 0xb836, v116
	v_fma_f16 v161, 0x3836, v28, v152
	v_fma_f16 v162, 0x3b76, v27, v158
	v_add_f16_e64 v157, v160, v157
	v_add_f16_e64 v129, v159, v129
	v_mul_f16_e64 v159, 0x3bf7, v123
	v_fma_f16 v160, 0xbbf7, v37, v154
	v_fma_f16 v163, 0xbacd, v29, v156
	v_add_f16_e64 v157, v162, v157
	v_add_f16_e64 v129, v161, v129
	v_mul_f16_e64 v161, 0x39e9, v137
	v_mul_f16_e64 v162, 0xb964, v126
	v_fma_f16 v164, 0x2de8, v39, v159
	v_add_f16_e64 v157, v163, v157
	v_add_f16_e64 v129, v160, v129
	v_fma_f16 v160, 0x3964, v46, v161
	v_mul_f16_e64 v163, 0xbbdd, v141
	v_mul_f16_e64 v166, 0xbacd, v135
	v_fma_f16 v165, 0x39e9, v49, v162
	v_add_f16_e64 v157, v164, v157
	v_add_f16_e64 v129, v160, v129
	v_fma_f16 v160, 0x31e1, v53, v163
	v_fma_f16 v167, 0x3836, v16, v166
	v_mul_f16_e64 v168, 0x3722, v23
	v_mul_f16_e64 v164, 0xb1e1, v138
	v_add_f16_e64 v157, v165, v157
	v_add_f16_e64 v129, v160, v129
	;; [unrolled: 1-line block ×3, first 2 shown]
	v_fma_f16 v165, 0xbb29, v25, v168
	v_mul_f16_e64 v167, 0x2de8, v136
	v_mul_f16_e32 v95, 0xb836, v95
	v_mul_f16_e64 v169, 0x3722, v145
	v_fma_f16 v170, 0xbbdd, v55, v164
	v_add_f16_e64 v160, v165, v160
	v_fma_f16 v165, 0x3bf7, v26, v167
	v_mul_f16_e64 v173, 0xb8d2, v133
	v_fma_f16 v174, 0xbacd, v24, v95
	v_mul_f16_e64 v175, 0x3b29, v94
	;; [unrolled: 2-line block ×3, first 2 shown]
	v_add_f16_e64 v157, v170, v157
	v_add_f16_e64 v160, v165, v160
	v_fma_f16 v165, 0xba62, v28, v173
	v_mul_f16_e64 v170, 0x3b76, v134
	v_add_f16_e64 v174, v174, v8
	v_fma_f16 v176, 0x3722, v73, v175
	v_mul_f16_e32 v105, 0xbbf7, v105
	v_add_f16_e64 v129, v171, v129
	v_fma_f16 v171, 0x3722, v58, v172
	v_add_f16_e64 v94, v165, v160
	v_fma_f16 v160, 0x35c8, v37, v170
	;; [unrolled: 2-line block ×3, first 2 shown]
	v_mul_f16_e32 v116, 0x3a62, v116
	v_mul_f16_e32 v123, 0xb5c8, v123
	v_add_f16_e64 v160, v160, v94
	v_add_f16_e64 v94, v171, v157
	;; [unrolled: 1-line block ×3, first 2 shown]
	v_fma_f16 v174, 0xb8d2, v29, v116
	v_fma_f16 v95, v24, 0xbacd, -v95
	v_fmac_f16_e64 v166, 0xb836, v16
	v_mul_f16_e64 v165, 0xbbdd, v137
	v_fmac_f16_e64 v168, 0x3b29, v25
	v_add_f16_e64 v171, v174, v171
	v_fma_f16 v174, 0x3b76, v39, v123
	v_add_f16_e32 v95, v95, v8
	v_add_f16_e64 v166, v166, v86
	v_fma_f16 v105, v27, 0x2de8, -v105
	v_fmac_f16_e64 v149, 0xba62, v16
	v_add_f16_e64 v171, v174, v171
	v_fma_f16 v174, v73, 0x3722, -v175
	v_fma_f16 v177, 0x31e1, v46, v165
	v_mul_f16_e64 v178, 0x39e9, v141
	v_add_f16_e64 v166, v168, v166
	v_fmac_f16_e64 v167, 0xbbf7, v26
	v_add_f16_e64 v95, v174, v95
	v_add_f16_e64 v149, v149, v86
	v_fmac_f16_e64 v150, 0x3bb2, v25
	v_fma_f16 v153, v24, 0xb8d2, -v153
	v_add_f16_e64 v157, v177, v160
	v_add_f16_e32 v95, v105, v95
	v_fma_f16 v105, v29, 0xb8d2, -v116
	v_fma_f16 v160, 0xb964, v53, v178
	v_mul_f16_e32 v126, 0xb1e1, v126
	v_add_f16_e64 v166, v167, v166
	v_fmac_f16_e64 v173, 0x3a62, v28
	v_add_f16_e32 v95, v105, v95
	v_fma_f16 v105, v39, 0x3b76, -v123
	v_add_f16_e64 v149, v150, v149
	v_fmac_f16_e64 v151, 0xb5c8, v26
	v_add_f16_e64 v153, v153, v8
	v_fma_f16 v155, v73, 0xb461, -v155
	v_add_f16_e64 v157, v160, v157
	v_mul_f16_e64 v160, 0xb461, v145
	v_fma_f16 v168, 0xbbdd, v49, v126
	v_mul_f16_e64 v138, 0x3964, v138
	v_add_f16_e64 v166, v173, v166
	v_fmac_f16_e64 v170, 0xb5c8, v37
	v_add_f16_e32 v95, v105, v95
	v_fma_f16 v126, v49, 0xbbdd, -v126
	v_add_f16_e64 v149, v151, v149
	v_fmac_f16_e64 v152, 0xb836, v28
	v_add_f16_e64 v153, v155, v153
	v_fma_f16 v155, v27, 0x3b76, -v158
	v_fma_f16 v176, 0x3bb2, v56, v160
	v_add_f16_e64 v167, v168, v171
	v_fma_f16 v168, 0x39e9, v55, v138
	v_mul_f16_e64 v143, 0xbbb2, v143
	v_add_f16_e64 v166, v170, v166
	v_fmac_f16_e64 v165, 0xb1e1, v46
	v_add_f16_e32 v95, v126, v95
	v_fma_f16 v138, v55, 0x39e9, -v138
	v_add_f16_e64 v149, v152, v149
	v_fmac_f16_e64 v154, 0x3bf7, v37
	v_add_f16_e64 v153, v155, v153
	v_fma_f16 v155, v29, 0xbacd, -v156
	v_add_f16_e64 v123, v176, v157
	v_add_f16_e64 v157, v165, v166
	v_fmac_f16_e64 v178, 0x3964, v53
	v_alignbit_b32 v105, v8, v8, 16
	v_add_f16_e64 v95, v138, v95
	v_fma_f16 v138, v58, 0xb461, -v143
	v_add_f16_e64 v149, v154, v149
	v_fmac_f16_e64 v161, 0xb964, v46
	v_add_f16_e64 v153, v155, v153
	v_fma_f16 v159, v39, 0x2de8, -v159
	v_add_f16_e64 v116, v168, v167
	v_fma_f16 v167, 0xb461, v58, v143
	v_add_f16_e64 v157, v178, v157
	v_fmac_f16_e64 v160, 0xbbb2, v56
	v_mul_f16_e64 v126, 0x39e9, v135
	v_mul_f16_e64 v143, 0x3722, v135
	v_add_f16_e64 v95, v138, v95
	v_mul_f16_e64 v138, 0x2de8, v135
	v_mul_f16_e64 v135, 0xb461, v135
	v_alignbit_b32 v64, v64, v64, 16
	v_add_f16_e64 v149, v161, v149
	v_fmac_f16_e64 v163, 0xb1e1, v53
	v_add_f16_e64 v153, v159, v153
	v_fma_f16 v162, v49, 0x39e9, -v162
	v_pk_add_f16 v9, v9, v105 op_sel:[0,1] op_sel_hi:[1,0]
	v_add_f16_e64 v157, v160, v157
	v_mul_f16_e64 v160, 0x3722, v24
	v_mul_f16_e64 v151, 0xb461, v24
	v_add_f16_e64 v149, v163, v149
	v_mul_f16_e64 v163, 0xbacd, v23
	v_add_f16_e64 v130, v130, v135
	v_add_f16_e64 v153, v162, v153
	v_fma_f16 v162, v55, 0xbbdd, -v164
	v_pk_add_f16 v9, v64, v9
	v_add_f16_e64 v116, v167, v116
	v_mul_f16_e64 v152, 0x39e9, v73
	v_mul_f16_e64 v154, 0xb8d2, v73
	v_mul_f16_e64 v161, 0xbbdd, v73
	v_mul_f16_e32 v73, 0xbacd, v73
	v_add_f16_e64 v130, v130, v86
	v_add_f16_e64 v131, v131, v163
	;; [unrolled: 1-line block ×3, first 2 shown]
	v_mul_f16_e64 v162, 0x39e9, v136
	v_fma_f16 v167, v58, 0x3722, -v172
	v_sub_f16_e64 v68, v151, v68
	v_sub_f16_e64 v51, v160, v51
	v_pk_add_f16 v9, v17, v9
	v_mul_f16_e64 v135, 0xbbdd, v27
	v_add_f16_e64 v130, v131, v130
	v_mul_f16_e64 v131, 0x39e9, v27
	v_add_f16_e64 v139, v139, v162
	v_add_f16_e64 v153, v167, v153
	v_mul_f16_e64 v167, 0x3722, v133
	v_add_f16_e32 v68, v68, v8
	v_sub_f16_e32 v71, v73, v71
	v_add_f16_e32 v51, v51, v8
	v_sub_f16_e64 v52, v154, v52
	v_pk_add_f16 v9, v18, v9
	v_mul_f16_e64 v158, 0x2de8, v23
	v_add_f16_e64 v130, v139, v130
	v_mul_f16_e64 v139, 0xb461, v29
	v_add_f16_e64 v140, v140, v167
	v_add_f16_e32 v68, v71, v68
	v_mul_f16_e64 v71, 0xbbdd, v134
	v_sub_f16_e64 v76, v131, v76
	v_add_f16_e32 v51, v52, v51
	v_sub_f16_e64 v52, v135, v59
	v_add_f16_e32 v59, v87, v126
	v_pk_add_f16 v9, v19, v9
	v_mul_f16_e64 v165, 0x3b76, v24
	v_mul_f16_e64 v150, 0x2de8, v24
	;; [unrolled: 1-line block ×4, first 2 shown]
	v_add_f16_e64 v130, v140, v130
	v_add_f16_e64 v71, v144, v71
	v_add_f16_e32 v68, v76, v68
	v_mul_f16_e64 v76, 0x2de8, v137
	v_add_f16_e32 v51, v52, v51
	v_sub_f16_e64 v52, v139, v60
	v_add_f16_e32 v59, v59, v86
	v_add_f16_e64 v60, v88, v158
	v_pk_add_f16 v9, v14, v9
	v_mul_f16_e64 v151, 0xbbdd, v133
	v_sub_f16_e64 v78, v131, v78
	v_add_f16_e64 v71, v71, v130
	v_mul_f16_e64 v130, 0xbbdd, v39
	v_add_f16_e64 v76, v146, v76
	v_sub_f16_e64 v57, v150, v57
	v_add_f16_e32 v59, v60, v59
	v_add_f16_e64 v60, v84, v166
	v_sub_f16_e64 v18, v165, v38
	v_pk_add_f16 v9, v15, v9
	v_mul_f16_e64 v159, 0x3722, v27
	v_mul_f16_e64 v144, 0xbacd, v134
	v_add_f16_e32 v68, v78, v68
	v_sub_f16_e64 v81, v130, v81
	v_add_f16_e32 v71, v76, v71
	v_mul_f16_e32 v76, 0x2de8, v49
	v_add_f16_e32 v57, v57, v8
	v_add_f16_e32 v17, v60, v59
	v_add_f16_e64 v59, v90, v151
	v_add_f16_e32 v8, v18, v8
	v_sub_f16_e64 v18, v152, v77
	v_pk_add_f16 v9, v12, v9
	v_mul_f16_e64 v155, 0xbbdd, v23
	v_mul_f16_e64 v162, 0x2de8, v29
	v_add_f16_e32 v68, v81, v68
	v_mul_f16_e64 v81, 0xb8d2, v145
	v_sub_f16_e32 v76, v76, v97
	v_mul_f16_e64 v97, 0xb461, v137
	v_add_f16_e32 v17, v59, v17
	v_add_f16_e64 v38, v92, v144
	v_add_f16_e32 v8, v18, v8
	v_sub_f16_e64 v18, v159, v79
	v_pk_add_f16 v9, v13, v9
	v_mul_f16_e64 v140, 0xb461, v39
	v_mul_f16_e64 v78, 0x3b76, v141
	v_add_f16_e64 v81, v148, v81
	v_mul_f16_e64 v148, 0x3b76, v55
	v_add_f16_e64 v120, v120, v155
	v_mul_f16_e64 v155, 0x3722, v141
	v_add_f16_e32 v17, v38, v17
	v_add_f16_e32 v19, v96, v97
	;; [unrolled: 1-line block ×3, first 2 shown]
	v_sub_f16_e64 v18, v162, v83
	v_pk_add_f16 v9, v10, v9
	v_add_f16_e64 v78, v147, v78
	v_mul_f16_e64 v147, 0xb8d2, v49
	v_add_f16_e32 v68, v76, v68
	v_sub_f16_e64 v101, v148, v101
	v_mul_f16_e64 v150, 0x3b76, v145
	v_add_f16_e32 v17, v19, v17
	v_add_f16_e64 v15, v100, v155
	v_add_f16_e32 v8, v18, v8
	v_sub_f16_e64 v13, v140, v89
	v_pk_add_f16 v9, v11, v9
	v_mul_f16_e64 v148, 0xbacd, v55
	v_add_f16_e32 v68, v101, v68
	v_mul_f16_e32 v101, 0xb8d2, v58
	v_add_f16_e32 v12, v15, v17
	v_add_f16_e64 v15, v111, v150
	v_add_f16_e32 v8, v13, v8
	v_sub_f16_e64 v10, v147, v91
	v_pk_add_f16 v6, v6, v9
	v_mul_f16_e64 v131, 0x39e9, v39
	v_add_f16_e64 v118, v118, v138
	v_sub_f16_e32 v101, v101, v102
	v_mul_f16_e32 v102, 0xbbdd, v58
	v_add_f16_e32 v12, v15, v12
	v_bfi_b32 v15, 0xffff, v30, v103
	v_add_f16_e32 v8, v10, v8
	v_sub_f16_e64 v10, v148, v93
	v_pk_add_f16 v6, v7, v6
	v_mul_f16_e64 v163, 0xb461, v27
	v_sub_f16_e64 v61, v161, v61
	v_mul_f16_e64 v164, 0xbbdd, v136
	v_mul_f16_e64 v136, 0xb461, v136
	v_add_f16_e32 v71, v78, v71
	v_mul_f16_e32 v78, 0x3b76, v49
	v_add_f16_e32 v118, v118, v86
	v_add_f16_e32 v51, v52, v51
	v_sub_f16_e64 v52, v131, v62
	v_bfi_b32 v17, 0xffff, v36, v104
	v_add_f16_e32 v8, v10, v8
	v_sub_f16_e32 v10, v102, v113
	v_and_b32_e32 v7, 0xffff, v47
	v_pk_add_f16 v15, v15, v105
	v_pk_mul_f16 v24, 0xbbdd, v24 op_sel_hi:[0,1]
	v_pk_add_f16 v4, v4, v6
	v_mul_f16_e64 v156, 0xb8d2, v23
	v_mul_f16_e64 v167, 0x3b76, v29
	v_add_f16_e32 v57, v61, v57
	v_sub_f16_e64 v61, v163, v65
	v_add_f16_e32 v65, v101, v68
	v_add_f16_e64 v68, v98, v143
	v_add_f16_e32 v71, v81, v71
	v_mul_f16_e32 v81, 0x2de8, v55
	v_add_f16_e32 v118, v120, v118
	v_add_f16_e64 v124, v124, v136
	v_add_f16_e32 v51, v52, v51
	v_sub_f16_e32 v52, v78, v63
	v_bfi_b32 v13, 0xffff, v40, v106
	v_add_f16_e32 v8, v10, v8
	v_add_lshl_u32 v6, v31, v7, 2
	v_pk_add_f16 v7, v17, v15
	v_pk_fma_f16 v10, 0xb1e1, v16, v24 op_sel:[0,0,1] op_sel_hi:[0,1,0] neg_lo:[0,1,0] neg_hi:[0,1,0]
	v_pk_mul_f16 v15, 0x35c8, v25 op_sel_hi:[0,1]
	v_pk_add_f16 v4, v5, v4
	v_pk_fma_f16 v5, 0xb1e1, v16, v24 op_sel:[0,0,1] op_sel_hi:[0,1,0]
	v_mul_f16_e64 v130, 0x3722, v39
	v_add_f16_e32 v57, v61, v57
	v_sub_f16_e64 v61, v167, v67
	v_add_f16_e32 v67, v68, v86
	v_add_f16_e64 v68, v99, v156
	v_add_f16_e32 v118, v124, v118
	v_mul_f16_e32 v124, 0xbacd, v58
	v_add_f16_e32 v51, v52, v51
	v_sub_f16_e32 v52, v81, v72
	v_bfi_b32 v18, 0xffff, v50, v108
	v_pk_add_f16 v7, v13, v7
	v_pk_add_f16 v10, v10, v105
	v_pk_fma_f16 v13, 0x3b76, v23, v15 op_sel_hi:[0,1,1] neg_lo:[0,0,1] neg_hi:[0,0,1]
	v_pk_mul_f16 v16, 0xbacd, v27 op_sel_hi:[0,1]
	v_pk_add_f16 v5, v5, v105
	v_pk_fma_f16 v15, 0x3b76, v23, v15 op_sel_hi:[0,1,1]
	v_mul_f16_e64 v73, 0xb461, v133
	v_mul_f16_e64 v133, 0x3b76, v133
	;; [unrolled: 1-line block ×3, first 2 shown]
	v_add_f16_e32 v57, v61, v57
	v_sub_f16_e64 v61, v130, v74
	v_add_f16_e32 v67, v68, v67
	v_add_f16_e64 v68, v107, v164
	v_add_f16_e32 v14, v52, v51
	v_sub_f16_e32 v19, v124, v75
	v_bfi_b32 v11, 0xffff, v54, v109
	v_pk_add_f16 v7, v18, v7
	v_pk_add_f16 v10, v13, v10
	v_pk_fma_f16 v13, 0xb836, v26, v16 op_sel:[0,0,1] op_sel_hi:[0,1,0] neg_lo:[0,1,0] neg_hi:[0,1,0]
	v_pk_mul_f16 v17, 0x39e9, v29 op_sel_hi:[0,1]
	v_pk_add_f16 v5, v15, v5
	v_pk_fma_f16 v15, 0xb836, v26, v16 op_sel:[0,0,1] op_sel_hi:[0,1,0]
	v_mul_f16_e64 v146, 0x39e9, v134
	v_mul_f16_e64 v134, 0x3722, v134
	;; [unrolled: 1-line block ×3, first 2 shown]
	v_add_f16_e64 v125, v125, v133
	v_add_f16_e32 v57, v61, v57
	v_sub_f16_e64 v61, v138, v80
	v_add_f16_e32 v67, v68, v67
	v_add_f16_e32 v68, v114, v73
	;; [unrolled: 1-line block ×3, first 2 shown]
	v_bfi_b32 v19, 0xffff, v66, v110
	v_pk_add_f16 v7, v11, v7
	v_pk_add_f16 v10, v13, v10
	v_pk_fma_f16 v11, 0x3964, v28, v17 op_sel:[0,0,1] op_sel_hi:[0,1,0] neg_lo:[0,1,0] neg_hi:[0,1,0]
	v_pk_mul_f16 v13, 0xb8d2, v39 op_sel_hi:[0,1]
	v_pk_add_f16 v5, v15, v5
	v_pk_fma_f16 v15, 0x3964, v28, v17 op_sel:[0,0,1] op_sel_hi:[0,1,0]
	v_mul_f16_e64 v76, 0x3b76, v137
	v_mul_f16_e64 v137, 0xbacd, v137
	;; [unrolled: 1-line block ×3, first 2 shown]
	v_add_f16_e32 v118, v125, v118
	v_add_f16_e64 v125, v127, v134
	v_add_f16_e32 v57, v61, v57
	v_sub_f16_e64 v61, v136, v82
	v_add_f16_e32 v67, v68, v67
	v_add_f16_e64 v68, v117, v146
	v_bfi_b32 v9, 0xffff, v69, v112
	v_pk_add_f16 v7, v19, v7
	v_pk_add_f16 v10, v11, v10
	v_pk_fma_f16 v11, 0xba62, v37, v13 op_sel:[0,0,1] op_sel_hi:[0,1,0] neg_lo:[0,1,0] neg_hi:[0,1,0]
	v_pk_mul_f16 v16, 0x3722, v49 op_sel_hi:[0,1]
	v_pk_add_f16 v5, v15, v5
	v_pk_fma_f16 v13, 0xba62, v37, v13 op_sel:[0,0,1] op_sel_hi:[0,1,0]
	v_mul_f16_e64 v120, 0x2de8, v141
	v_mul_f16_e64 v141, 0xb8d2, v141
	v_add_f16_e32 v98, v125, v118
	v_add_f16_e64 v101, v128, v137
	v_add_f16_e32 v57, v61, v57
	v_sub_f16_e64 v61, v161, v85
	v_add_f16_e32 v67, v68, v67
	v_add_f16_e32 v68, v119, v76
	v_pk_add_f16 v7, v9, v7
	v_pk_add_f16 v9, v11, v10
	v_pk_fma_f16 v10, 0x3b29, v46, v16 op_sel:[0,0,1] op_sel_hi:[0,1,0] neg_lo:[0,1,0] neg_hi:[0,1,0]
	v_pk_mul_f16 v11, 0xb461, v55 op_sel_hi:[0,1]
	v_pk_add_f16 v5, v13, v5
	v_pk_fma_f16 v13, 0x3b29, v46, v16 op_sel:[0,0,1] op_sel_hi:[0,1,0]
	v_mul_f16_e64 v133, 0xbacd, v145
	v_mul_f16_e64 v145, 0x39e9, v145
	v_add_f16_e32 v98, v101, v98
	v_add_f16_e64 v99, v132, v141
	v_add_f16_e32 v57, v61, v57
	v_add_f16_e32 v61, v68, v67
	;; [unrolled: 1-line block ×3, first 2 shown]
	v_pk_add_f16 v9, v10, v9
	v_pk_fma_f16 v10, 0xbbb2, v53, v11 op_sel:[0,0,1] op_sel_hi:[0,1,0] neg_lo:[0,1,0] neg_hi:[0,1,0]
	v_pk_mul_f16 v15, 0x2de8, v58 op_sel_hi:[0,1]
	v_pk_add_f16 v5, v13, v5
	v_pk_fma_f16 v11, 0xbbb2, v53, v11 op_sel:[0,0,1] op_sel_hi:[0,1,0]
	v_bfi_b32 v30, 0xffff, v70, v115
	v_add_f16_e32 v74, v99, v98
	v_add_f16_e64 v98, v142, v145
	v_add_f16_e32 v61, v67, v61
	v_add_f16_e64 v62, v121, v133
	v_fmac_f16_e64 v169, 0x3b29, v56
	v_pk_add_f16 v9, v10, v9
	v_pk_fma_f16 v10, 0x3bf7, v56, v15 op_sel:[0,0,1] op_sel_hi:[0,1,0] neg_lo:[0,1,0] neg_hi:[0,1,0]
	v_pk_add_f16 v5, v11, v5
	v_pk_fma_f16 v11, 0x3bf7, v56, v15 op_sel:[0,0,1] op_sel_hi:[0,1,0]
	v_pk_add_f16 v7, v30, v7
	v_add_f16_e32 v73, v98, v74
	v_add_f16_e32 v60, v62, v61
	v_add_f16_e64 v149, v169, v149
	v_pk_add_f16 v4, v21, v4
	v_pack_b32_f16 v13, v95, v157
	v_pk_add_f16 v9, v10, v9
	v_pk_add_f16 v5, v11, v5
	v_alignbit_b32 v12, v12, v7, 16
	v_pack_b32_f16 v7, v8, v7
	v_pack_b32_f16 v8, v57, v73
	;; [unrolled: 1-line block ×5, first 2 shown]
	ds_store_2addr_b32 v6, v4, v13 offset1:7
	v_alignbit_b32 v4, v9, v5, 16
	v_alignbit_b32 v5, v5, v9, 16
	v_pack_b32_f16 v9, v94, v129
	v_pack_b32_f16 v13, v116, v123
	v_perm_b32 v15, v35, v1, 0x5040100
	v_perm_b32 v16, v32, v0, 0x5040100
	;; [unrolled: 1-line block ×5, first 2 shown]
	ds_store_2addr_b32 v6, v7, v12 offset0:1 offset1:2
	ds_store_2addr_b32 v6, v10, v8 offset0:3 offset1:4
	;; [unrolled: 1-line block ×7, first 2 shown]
	ds_store_b32 v6, v19 offset:64
.LBB0_7:
	s_wait_alu 0xfffe
	s_or_b32 exec_lo, exec_lo, s0
	v_add_lshl_u32 v49, v31, v44, 2
	global_wb scope:SCOPE_SE
	s_wait_dscnt 0x0
	s_barrier_signal -1
	s_barrier_wait -1
	global_inv scope:SCOPE_SE
	v_add_nc_u32_e32 v8, 0x600, v49
	v_add_nc_u32_e32 v9, 0x800, v49
	;; [unrolled: 1-line block ×4, first 2 shown]
	ds_load_2addr_b32 v[4:5], v49 offset1:68
	ds_load_2addr_b32 v[6:7], v49 offset0:136 offset1:238
	ds_load_2addr_b32 v[29:30], v8 offset0:92 offset1:160
	;; [unrolled: 1-line block ×5, first 2 shown]
	v_cmp_gt_u16_e64 s0, 34, v44
	s_delay_alu instid0(VALU_DEP_1)
	s_and_saveexec_b32 s1, s0
	s_cbranch_execz .LBB0_9
; %bb.8:
	v_add_nc_u32_e32 v0, 0x300, v49
	v_add_nc_u32_e32 v2, 0xa80, v49
	ds_load_2addr_b32 v[0:1], v0 offset0:12 offset1:250
	ds_load_2addr_b32 v[2:3], v2 offset0:8 offset1:246
	s_wait_dscnt 0x1
	v_lshrrev_b32_e32 v32, 16, v0
	v_lshrrev_b32_e32 v35, 16, v1
	s_wait_dscnt 0x0
	v_lshrrev_b32_e32 v34, 16, v2
	v_lshrrev_b32_e32 v33, 16, v3
.LBB0_9:
	s_wait_alu 0xfffe
	s_or_b32 exec_lo, exec_lo, s1
	v_and_b32_e32 v8, 0xff, v44
	v_add_nc_u16 v9, v44, 0x44
	v_add_nc_u16 v36, v44, 0xcc
	;; [unrolled: 1-line block ×3, first 2 shown]
	s_wait_dscnt 0x4
	v_lshrrev_b32_e32 v59, 16, v7
	v_mul_lo_u16 v8, 0xf1, v8
	v_and_b32_e32 v10, 0xff, v9
	v_and_b32_e32 v11, 0xffff, v36
	;; [unrolled: 1-line block ×3, first 2 shown]
	s_wait_dscnt 0x3
	v_lshrrev_b32_e32 v62, 16, v29
	v_lshrrev_b16 v21, 12, v8
	v_mul_lo_u16 v8, 0xf1, v10
	v_mul_u32_u24_e32 v38, 0xf0f1, v11
	v_mul_lo_u16 v11, 0xf1, v39
	s_wait_dscnt 0x2
	v_lshrrev_b32_e32 v64, 16, v24
	v_mul_lo_u16 v10, v21, 17
	v_lshrrev_b16 v40, 12, v8
	v_lshrrev_b32_e32 v46, 20, v38
	v_lshrrev_b16 v52, 12, v11
	v_and_b32_e32 v21, 0xffff, v21
	v_sub_nc_u16 v8, v44, v10
	v_mul_lo_u16 v10, v40, 17
	v_mul_lo_u16 v11, v46, 17
	;; [unrolled: 1-line block ×3, first 2 shown]
	v_and_b32_e32 v40, 0xffff, v40
	v_and_b32_e32 v53, 0xff, v8
	v_sub_nc_u16 v10, v9, v10
	v_sub_nc_u16 v54, v36, v11
	;; [unrolled: 1-line block ×3, first 2 shown]
	v_mul_u32_u24_e32 v21, 0x44, v21
	v_mad_co_u64_u32 v[8:9], null, v53, 12, s[2:3]
	v_and_b32_e32 v55, 0xff, v10
	v_mul_lo_u16 v13, v54, 12
	v_and_b32_e32 v56, 0xff, v12
	v_mul_u32_u24_e32 v40, 0x44, v40
	v_add_nc_u32_e32 v21, v21, v53
	v_mad_co_u64_u32 v[10:11], null, v55, 12, s[2:3]
	v_and_b32_e32 v12, 0xffff, v13
	global_load_b96 v[17:19], v[8:9], off
	v_add_nc_u32_e32 v40, v40, v55
	s_wait_dscnt 0x1
	v_lshrrev_b32_e32 v66, 16, v27
	v_lshrrev_b32_e32 v72, 16, v30
	v_add_co_u32 v50, s1, s2, v12
	global_load_b96 v[14:16], v[10:11], off
	v_mad_co_u64_u32 v[8:9], null, v56, 12, s[2:3]
	s_wait_alu 0xf1ff
	v_add_co_ci_u32_e64 v51, null, s3, 0, s1
	s_clause 0x1
	global_load_b96 v[11:13], v[8:9], off
	global_load_b96 v[8:10], v[50:51], off
	v_and_b32_e32 v50, 0xffff, v52
	s_wait_dscnt 0x0
	v_lshrrev_b32_e32 v73, 16, v25
	v_add_lshl_u32 v55, v31, v21, 2
	v_lshrrev_b32_e32 v75, 16, v28
	v_lshrrev_b32_e32 v76, 16, v23
	v_mul_u32_u24_e32 v50, 0x44, v50
	v_lshrrev_b32_e32 v77, 16, v26
	v_lshrrev_b32_e32 v57, 16, v4
	;; [unrolled: 1-line block ×4, first 2 shown]
	v_add_nc_u32_e32 v51, v50, v56
	v_mad_u16 v50, 0x44, v46, v54
	v_add_lshl_u32 v54, v31, v40, 2
	s_load_b128 s[4:7], s[4:5], 0x0
	global_wb scope:SCOPE_SE
	s_wait_loadcnt 0x0
	v_add_lshl_u32 v53, v31, v51, 2
	s_wait_kmcnt 0x0
	s_barrier_signal -1
	s_barrier_wait -1
	global_inv scope:SCOPE_SE
	v_lshrrev_b32_e32 v71, 16, v17
	v_lshrrev_b32_e32 v70, 16, v18
	v_lshrrev_b32_e32 v69, 16, v19
	s_delay_alu instid0(VALU_DEP_3) | instskip(SKIP_1) | instid1(VALU_DEP_4)
	v_mul_f16_e32 v21, v59, v71
	v_mul_f16_e32 v40, v7, v71
	;; [unrolled: 1-line block ×6, first 2 shown]
	v_lshrrev_b32_e32 v68, 16, v14
	v_lshrrev_b32_e32 v67, 16, v15
	;; [unrolled: 1-line block ×9, first 2 shown]
	v_fma_f16 v7, v7, v17, -v21
	v_fmac_f16_e32 v40, v59, v17
	v_fma_f16 v21, v29, v18, -v46
	v_fmac_f16_e32 v78, v62, v18
	;; [unrolled: 2-line block ×3, first 2 shown]
	v_mul_f16_e32 v29, v66, v68
	v_mul_f16_e32 v46, v27, v68
	;; [unrolled: 1-line block ×17, first 2 shown]
	v_fma_f16 v27, v27, v14, -v29
	v_fmac_f16_e32 v46, v66, v14
	v_fma_f16 v29, v30, v15, -v59
	v_fmac_f16_e32 v62, v72, v15
	;; [unrolled: 2-line block ×3, first 2 shown]
	v_sub_f16_e32 v30, v57, v78
	v_sub_f16_e32 v59, v40, v80
	v_mul_f16_e32 v88, v1, v52
	v_fma_f16 v28, v28, v11, -v81
	v_fmac_f16_e32 v82, v75, v11
	v_fma_f16 v23, v23, v12, -v83
	v_fmac_f16_e32 v84, v76, v12
	;; [unrolled: 2-line block ×3, first 2 shown]
	v_sub_f16_e32 v21, v4, v21
	v_sub_f16_e32 v24, v7, v24
	v_fma_f16 v64, v1, v8, -v87
	v_fma_f16 v1, v2, v9, -v89
	v_fmac_f16_e32 v90, v34, v9
	v_fma_f16 v3, v3, v10, -v91
	v_fmac_f16_e32 v92, v33, v10
	v_fma_f16 v33, v57, 2.0, -v30
	v_fma_f16 v34, v40, 2.0, -v59
	v_sub_f16_e32 v29, v5, v29
	v_sub_f16_e32 v40, v65, v62
	;; [unrolled: 1-line block ×4, first 2 shown]
	v_fmac_f16_e32 v88, v35, v8
	v_sub_f16_e32 v35, v21, v59
	v_sub_f16_e32 v23, v6, v23
	v_sub_f16_e32 v59, v74, v84
	v_sub_f16_e32 v26, v28, v26
	v_sub_f16_e32 v62, v82, v86
	v_fma_f16 v4, v4, 2.0, -v21
	v_fma_f16 v7, v7, 2.0, -v24
	v_sub_f16_e32 v2, v0, v1
	v_sub_f16_e32 v1, v32, v90
	;; [unrolled: 1-line block ×3, first 2 shown]
	v_fma_f16 v5, v5, 2.0, -v29
	v_fma_f16 v65, v65, 2.0, -v40
	;; [unrolled: 1-line block ×8, first 2 shown]
	v_add_f16_e32 v24, v30, v24
	v_sub_f16_e32 v72, v88, v92
	v_sub_f16_e32 v7, v4, v7
	v_sub_f16_e32 v34, v33, v34
	v_sub_f16_e32 v57, v29, v57
	v_add_f16_e32 v25, v40, v25
	v_fma_f16 v3, v0, 2.0, -v2
	v_fma_f16 v0, v32, 2.0, -v1
	;; [unrolled: 1-line block ×3, first 2 shown]
	v_sub_f16_e32 v27, v5, v27
	v_sub_f16_e32 v46, v65, v46
	;; [unrolled: 1-line block ×3, first 2 shown]
	v_add_f16_e32 v26, v59, v26
	v_add_f16_e32 v89, v1, v66
	v_sub_f16_e32 v64, v6, v28
	v_sub_f16_e32 v66, v74, v75
	v_fma_f16 v73, v21, 2.0, -v35
	v_fma_f16 v30, v30, 2.0, -v24
	v_pack_b32_f16 v24, v35, v24
	v_fma_f16 v35, v88, 2.0, -v72
	v_fma_f16 v4, v4, 2.0, -v7
	;; [unrolled: 1-line block ×3, first 2 shown]
	v_pack_b32_f16 v7, v7, v34
	v_fma_f16 v29, v29, 2.0, -v57
	v_fma_f16 v40, v40, 2.0, -v25
	v_sub_f16_e32 v28, v3, v32
	v_fma_f16 v5, v5, 2.0, -v27
	v_fma_f16 v32, v65, 2.0, -v46
	;; [unrolled: 1-line block ×6, first 2 shown]
	v_sub_f16_e32 v21, v2, v72
	v_pack_b32_f16 v30, v73, v30
	v_sub_f16_e32 v93, v0, v35
	v_pack_b32_f16 v4, v4, v33
	v_pack_b32_f16 v25, v57, v25
	ds_store_2addr_b32 v55, v7, v24 offset0:34 offset1:51
	v_pack_b32_f16 v24, v27, v46
	v_pack_b32_f16 v7, v29, v40
	;; [unrolled: 1-line block ×7, first 2 shown]
	ds_store_2addr_b32 v55, v4, v30 offset1:17
	ds_store_2addr_b32 v54, v24, v25 offset0:34 offset1:51
	ds_store_2addr_b32 v54, v5, v7 offset1:17
	ds_store_2addr_b32 v53, v6, v23 offset1:17
	ds_store_2addr_b32 v53, v27, v26 offset0:34 offset1:51
	s_and_saveexec_b32 s1, s0
	s_cbranch_execz .LBB0_11
; %bb.10:
	v_fma_f16 v2, v2, 2.0, -v21
	v_fma_f16 v3, v3, 2.0, -v28
	v_and_b32_e32 v4, 0xffff, v50
	v_fma_f16 v0, v0, 2.0, -v93
	v_fma_f16 v1, v1, 2.0, -v89
	s_delay_alu instid0(VALU_DEP_3) | instskip(NEXT) | instid1(VALU_DEP_3)
	v_add_lshl_u32 v4, v31, v4, 2
	v_pack_b32_f16 v0, v3, v0
	s_delay_alu instid0(VALU_DEP_3)
	v_pack_b32_f16 v1, v2, v1
	v_perm_b32 v2, v93, v28, 0x5040100
	v_perm_b32 v3, v89, v21, 0x5040100
	ds_store_2addr_b32 v4, v0, v1 offset1:17
	ds_store_2addr_b32 v4, v2, v3 offset0:34 offset1:51
.LBB0_11:
	s_wait_alu 0xfffe
	s_or_b32 exec_lo, exec_lo, s1
	v_mul_lo_u16 v0, 0x79, v39
	v_add_nc_u32_e32 v1, 0x110, v44
	v_add_nc_u32_e32 v2, 0x154, v44
	;; [unrolled: 1-line block ×3, first 2 shown]
	global_wb scope:SCOPE_SE
	s_wait_dscnt 0x0
	v_lshrrev_b16 v0, 13, v0
	s_barrier_signal -1
	s_barrier_wait -1
	global_inv scope:SCOPE_SE
	global_load_b32 v57, v42, s[2:3] offset:204
	v_and_b32_e32 v4, 0xffff, v1
	v_lshrrev_b32_e32 v5, 22, v38
	v_and_b32_e32 v6, 0xffff, v2
	v_mul_lo_u16 v0, 0x44, v0
	v_and_b32_e32 v7, 0xffff, v3
	v_mul_u32_u24_e32 v4, 0xf0f1, v4
	v_mul_lo_u16 v5, 0x44, v5
	v_mul_u32_u24_e32 v6, 0xf0f1, v6
	v_sub_nc_u16 v0, v37, v0
	v_mul_u32_u24_e32 v7, 0xf0f1, v7
	v_lshrrev_b32_e32 v4, 22, v4
	v_sub_nc_u16 v5, v36, v5
	v_lshrrev_b32_e32 v6, 22, v6
	v_and_b32_e32 v27, 0xff, v0
	v_lshrrev_b32_e32 v0, 22, v7
	v_mul_lo_u16 v4, 0x44, v4
	v_and_b32_e32 v32, 0xffff, v5
	v_mul_lo_u16 v5, 0x44, v6
	v_lshlrev_b32_e32 v6, 2, v27
	v_mul_lo_u16 v0, 0x44, v0
	v_sub_nc_u16 v1, v1, v4
	v_lshlrev_b32_e32 v4, 2, v32
	v_sub_nc_u16 v2, v2, v5
	global_load_b32 v66, v6, s[2:3] offset:204
	v_sub_nc_u16 v0, v3, v0
	v_and_b32_e32 v33, 0xffff, v1
	global_load_b32 v65, v4, s[2:3] offset:204
	v_and_b32_e32 v34, 0xffff, v2
	v_add_nc_u32_e32 v36, 0x600, v49
	v_and_b32_e32 v35, 0xffff, v0
	v_lshlrev_b32_e32 v0, 2, v33
	v_add_lshl_u32 v73, v31, v32, 2
	v_lshlrev_b32_e32 v1, 2, v34
	v_add_lshl_u32 v77, v31, v27, 2
	v_lshlrev_b32_e32 v2, 2, v35
	s_clause 0x2
	global_load_b32 v64, v0, s[2:3] offset:204
	global_load_b32 v62, v1, s[2:3] offset:204
	;; [unrolled: 1-line block ×3, first 2 shown]
	ds_load_2addr_b32 v[0:1], v49 offset1:68
	ds_load_b32 v37, v49 offset:544
	ds_load_b32 v38, v49 offset:2448
	ds_load_2addr_b32 v[2:3], v36 offset0:92 offset1:160
	v_add_lshl_u32 v76, v31, v33, 2
	v_add_lshl_u32 v75, v31, v34, 2
	;; [unrolled: 1-line block ×3, first 2 shown]
	v_add_nc_u32_e32 v39, 0x200, v49
	v_add_nc_u32_e32 v40, 0x800, v49
	v_add_nc_u32_e32 v46, 0x400, v49
	v_add_nc_u32_e32 v72, 0xc00, v49
	ds_load_2addr_b32 v[4:5], v39 offset0:76 offset1:144
	ds_load_2addr_b32 v[6:7], v40 offset0:168 offset1:236
	;; [unrolled: 1-line block ×4, first 2 shown]
	global_wb scope:SCOPE_SE
	s_wait_loadcnt_dscnt 0x0
	s_barrier_signal -1
	s_barrier_wait -1
	global_inv scope:SCOPE_SE
	v_mad_co_u64_u32 v[29:30], null, v44, 24, s[2:3]
	v_add_nc_u32_e32 v95, 0x400, v77
	v_add_nc_u32_e32 v94, 0x400, v73
	v_lshrrev_b32_e32 v79, 16, v0
	v_lshrrev_b32_e32 v80, 16, v1
	;; [unrolled: 1-line block ×6, first 2 shown]
	v_add_nc_u32_e32 v96, 0xc00, v74
	v_lshrrev_b32_e32 v85, 16, v4
	v_lshrrev_b32_e32 v86, 16, v6
	;; [unrolled: 1-line block ×9, first 2 shown]
	s_delay_alu instid0(VALU_DEP_1) | instskip(SKIP_3) | instid1(VALU_DEP_4)
	v_mul_f16_e32 v31, v32, v78
	v_mul_f16_e32 v33, v2, v78
	;; [unrolled: 1-line block ×4, first 2 shown]
	v_fma_f16 v2, v2, v57, -v31
	s_delay_alu instid0(VALU_DEP_4) | instskip(NEXT) | instid1(VALU_DEP_4)
	v_fmac_f16_e32 v33, v32, v57
	v_fma_f16 v3, v3, v57, -v34
	s_delay_alu instid0(VALU_DEP_4)
	v_fmac_f16_e32 v35, v81, v57
	v_add_nc_u32_e32 v31, 0x800, v76
	v_sub_f16_e32 v2, v0, v2
	v_sub_f16_e32 v32, v79, v33
	;; [unrolled: 1-line block ×4, first 2 shown]
	v_add_nc_u32_e32 v33, 0x800, v75
	v_fma_f16 v0, v0, 2.0, -v2
	v_fma_f16 v35, v79, 2.0, -v32
	;; [unrolled: 1-line block ×4, first 2 shown]
	v_pack_b32_f16 v2, v2, v32
	v_lshrrev_b32_e32 v83, 16, v66
	v_pack_b32_f16 v0, v0, v35
	v_pack_b32_f16 v3, v3, v34
	;; [unrolled: 1-line block ×3, first 2 shown]
	v_lshrrev_b32_e32 v81, 16, v65
	ds_store_2addr_b32 v49, v0, v2 offset1:68
	v_mul_f16_e32 v2, v38, v83
	v_mul_f16_e32 v0, v82, v83
	ds_store_2addr_b32 v49, v1, v3 offset0:136 offset1:204
	v_mul_f16_e32 v1, v86, v81
	v_mul_f16_e32 v3, v6, v81
	v_fmac_f16_e32 v2, v82, v66
	v_lshrrev_b32_e32 v82, 16, v64
	v_lshrrev_b32_e32 v80, 16, v62
	;; [unrolled: 1-line block ×3, first 2 shown]
	v_fma_f16 v0, v38, v66, -v0
	v_fma_f16 v1, v6, v65, -v1
	v_fmac_f16_e32 v3, v86, v65
	v_mul_f16_e32 v6, v88, v82
	v_mul_f16_e32 v32, v7, v82
	;; [unrolled: 1-line block ×6, first 2 shown]
	v_sub_f16_e32 v0, v37, v0
	v_sub_f16_e32 v2, v84, v2
	;; [unrolled: 1-line block ×4, first 2 shown]
	v_fma_f16 v6, v7, v64, -v6
	v_fmac_f16_e32 v32, v88, v64
	v_fma_f16 v7, v25, v62, -v34
	v_fmac_f16_e32 v35, v27, v62
	;; [unrolled: 2-line block ×3, first 2 shown]
	v_fma_f16 v26, v37, 2.0, -v0
	v_fma_f16 v27, v84, 2.0, -v2
	;; [unrolled: 1-line block ×4, first 2 shown]
	v_pack_b32_f16 v0, v0, v2
	v_pack_b32_f16 v1, v1, v3
	v_sub_f16_e32 v2, v5, v6
	v_sub_f16_e32 v3, v87, v32
	;; [unrolled: 1-line block ×6, first 2 shown]
	v_pack_b32_f16 v26, v26, v27
	v_fma_f16 v5, v5, 2.0, -v2
	v_fma_f16 v27, v87, 2.0, -v3
	v_pack_b32_f16 v4, v4, v34
	v_fma_f16 v23, v23, 2.0, -v6
	v_fma_f16 v34, v90, 2.0, -v7
	;; [unrolled: 1-line block ×4, first 2 shown]
	v_pack_b32_f16 v2, v2, v3
	v_pack_b32_f16 v5, v5, v27
	;; [unrolled: 1-line block ×6, first 2 shown]
	ds_store_2addr_b32 v95, v26, v0 offset0:16 offset1:84
	ds_store_2addr_b32 v94, v4, v1 offset0:152 offset1:220
	;; [unrolled: 1-line block ×5, first 2 shown]
	global_wb scope:SCOPE_SE
	s_wait_dscnt 0x0
	s_barrier_signal -1
	s_barrier_wait -1
	global_inv scope:SCOPE_SE
	s_clause 0x3
	global_load_b128 v[4:7], v[29:30], off offset:476
	global_load_b64 v[23:24], v[29:30], off offset:492
	global_load_b128 v[0:3], v[29:30], off offset:2108
	global_load_b64 v[25:26], v[29:30], off offset:2124
	ds_load_2addr_b32 v[29:30], v49 offset1:68
	ds_load_b32 v27, v49 offset:544
	ds_load_2addr_b32 v[31:32], v39 offset0:76 offset1:144
	ds_load_2addr_b32 v[33:34], v46 offset0:84 offset1:152
	;; [unrolled: 1-line block ×5, first 2 shown]
	ds_load_b32 v98, v49 offset:2448
	v_lshl_add_u32 v72, v44, 2, v45
	v_add_nc_u32_e32 v46, v45, v42
	s_delay_alu instid0(VALU_DEP_1)
	v_add_nc_u32_e32 v113, 0x400, v46
	v_add_nc_u32_e32 v114, 0x600, v46
	;; [unrolled: 1-line block ×5, first 2 shown]
	s_wait_dscnt 0x7
	v_lshrrev_b32_e32 v99, 16, v29
	s_wait_dscnt 0x6
	v_lshrrev_b32_e32 v100, 16, v27
	;; [unrolled: 2-line block ×7, first 2 shown]
	v_lshrrev_b32_e32 v107, 16, v31
	v_lshrrev_b32_e32 v108, 16, v33
	;; [unrolled: 1-line block ×5, first 2 shown]
	s_wait_dscnt 0x0
	v_lshrrev_b32_e32 v110, 16, v98
	v_lshrrev_b32_e32 v106, 16, v30
	s_wait_loadcnt 0x3
	v_lshrrev_b32_e32 v97, 16, v4
	v_lshrrev_b32_e32 v96, 16, v5
	s_wait_loadcnt 0x2
	v_lshrrev_b32_e32 v92, 16, v23
	v_lshrrev_b32_e32 v91, 16, v24
	;; [unrolled: 1-line block ×4, first 2 shown]
	s_wait_loadcnt 0x1
	v_lshrrev_b32_e32 v90, 16, v0
	v_lshrrev_b32_e32 v88, 16, v1
	s_wait_loadcnt 0x0
	v_lshrrev_b32_e32 v85, 16, v25
	v_lshrrev_b32_e32 v84, 16, v26
	;; [unrolled: 1-line block ×4, first 2 shown]
	v_mul_f16_e32 v118, v100, v97
	v_mul_f16_e32 v119, v27, v97
	;; [unrolled: 1-line block ×6, first 2 shown]
	v_mul_f16_e64 v128, v105, v91
	v_mul_f16_e64 v129, v39, v91
	v_mul_f16_e32 v122, v102, v95
	v_mul_f16_e32 v123, v34, v95
	v_mul_f16_e32 v124, v103, v94
	v_mul_f16_e32 v125, v36, v94
	v_mul_f16_e64 v130, v107, v90
	v_mul_f16_e64 v131, v31, v90
	;; [unrolled: 1-line block ×12, first 2 shown]
	v_fma_f16 v27, v27, v4, -v118
	v_fmac_f16_e32 v119, v100, v4
	v_fma_f16 v32, v32, v5, -v120
	v_fmac_f16_e32 v121, v101, v5
	;; [unrolled: 2-line block ×3, first 2 shown]
	v_fma_f16 v39, v39, v24, -v128
	v_fmac_f16_e64 v129, v105, v24
	v_fma_f16 v34, v34, v6, -v122
	v_fmac_f16_e32 v123, v102, v6
	v_fma_f16 v36, v36, v7, -v124
	v_fmac_f16_e32 v125, v103, v7
	v_fma_f16 v31, v31, v0, -v130
	v_fmac_f16_e64 v131, v107, v0
	v_fma_f16 v33, v33, v1, -v132
	v_fmac_f16_e64 v133, v108, v1
	;; [unrolled: 2-line block ×6, first 2 shown]
	v_add_f16_e32 v100, v27, v39
	v_add_f16_e64 v101, v119, v129
	v_add_f16_e32 v102, v32, v37
	v_add_f16_e32 v103, v121, v127
	v_sub_f16_e32 v27, v27, v39
	v_sub_f16_e64 v39, v119, v129
	v_sub_f16_e32 v32, v32, v37
	v_sub_f16_e32 v37, v121, v127
	v_add_f16_e32 v104, v34, v36
	v_add_f16_e32 v105, v123, v125
	v_sub_f16_e32 v34, v36, v34
	v_sub_f16_e32 v36, v125, v123
	v_add_f16_e32 v107, v31, v40
	v_add_f16_e64 v108, v131, v141
	v_add_f16_e32 v109, v33, v38
	v_add_f16_e64 v110, v133, v139
	v_sub_f16_e32 v31, v31, v40
	v_sub_f16_e64 v40, v131, v141
	v_sub_f16_e32 v33, v33, v38
	v_sub_f16_e64 v38, v133, v139
	v_add_f16_e32 v111, v35, v98
	v_add_f16_e64 v112, v135, v137
	v_sub_f16_e32 v35, v98, v35
	v_sub_f16_e64 v98, v137, v135
	v_add_f16_e32 v118, v102, v100
	v_add_f16_e32 v119, v103, v101
	v_sub_f16_e32 v120, v102, v100
	v_sub_f16_e32 v121, v103, v101
	;; [unrolled: 1-line block ×6, first 2 shown]
	v_add_f16_e32 v122, v34, v32
	v_add_f16_e32 v123, v36, v37
	v_sub_f16_e32 v124, v34, v32
	v_sub_f16_e32 v125, v36, v37
	;; [unrolled: 1-line block ×4, first 2 shown]
	v_add_f16_e32 v126, v109, v107
	v_add_f16_e32 v127, v110, v108
	v_sub_f16_e64 v128, v109, v107
	v_sub_f16_e64 v129, v110, v108
	v_sub_f16_e32 v107, v107, v111
	v_sub_f16_e32 v109, v111, v109
	;; [unrolled: 1-line block ×3, first 2 shown]
	v_add_f16_e64 v130, v35, v33
	v_add_f16_e64 v131, v98, v38
	v_sub_f16_e64 v132, v35, v33
	v_sub_f16_e64 v133, v98, v38
	v_sub_f16_e32 v33, v33, v31
	v_sub_f16_e32 v38, v38, v40
	v_add_f16_e32 v104, v104, v118
	v_add_f16_e32 v105, v105, v119
	v_sub_f16_e32 v34, v27, v34
	v_sub_f16_e32 v36, v39, v36
	;; [unrolled: 1-line block ×3, first 2 shown]
	v_add_f16_e32 v27, v122, v27
	v_add_f16_e32 v39, v123, v39
	v_mul_f16_e32 v100, 0x3a52, v100
	v_mul_f16_e32 v101, 0x3a52, v101
	;; [unrolled: 1-line block ×8, first 2 shown]
	v_add_f16_e32 v111, v111, v126
	v_add_f16_e32 v112, v112, v127
	v_sub_f16_e32 v35, v31, v35
	v_sub_f16_e64 v134, v40, v98
	v_add_f16_e64 v31, v130, v31
	v_add_f16_e64 v40, v131, v40
	v_mul_f16_e32 v107, 0x3a52, v107
	v_mul_f16_e32 v126, 0x2b26, v109
	;; [unrolled: 1-line block ×3, first 2 shown]
	v_mul_f16_e64 v130, 0xb846, v132
	v_mul_f16_e64 v131, 0xb846, v133
	;; [unrolled: 1-line block ×4, first 2 shown]
	v_add_f16_e32 v98, v29, v104
	v_add_f16_e32 v99, v99, v105
	v_mul_f16_e32 v108, 0x3a52, v108
	v_fmamk_f16 v102, v102, 0x2b26, v100
	v_fmamk_f16 v103, v103, 0x2b26, v101
	v_fma_f16 v118, v120, 0x39e0, -v118
	v_fma_f16 v119, v121, 0x39e0, -v119
	;; [unrolled: 1-line block ×4, first 2 shown]
	v_fmamk_f16 v121, v34, 0x3574, v122
	v_fma_f16 v135, 0x3574, v36, v123
	v_fma_f16 v32, v32, 0x3b00, -v122
	v_fma_f16 v122, v37, 0x3b00, -v123
	;; [unrolled: 1-line block ×4, first 2 shown]
	v_add_f16_e32 v29, v30, v111
	v_add_f16_e32 v100, v106, v112
	v_fmamk_f16 v30, v109, 0x2b26, v107
	v_fma_f16 v37, v128, 0x39e0, -v126
	v_fma_f16 v106, v129, 0x39e0, -v127
	;; [unrolled: 1-line block ×3, first 2 shown]
	v_fma_f16 v124, 0x3574, v35, v130
	v_fma_f16 v125, 0x3574, v134, v131
	v_fma_f16 v126, v33, 0x3b00, -v130
	v_fma_f16 v33, v38, 0x3b00, -v131
	;; [unrolled: 1-line block ×4, first 2 shown]
	v_fmamk_f16 v35, v104, 0xbcab, v98
	v_fmamk_f16 v38, v105, 0xbcab, v99
	;; [unrolled: 1-line block ×3, first 2 shown]
	v_fmac_f16_e32 v121, 0x370e, v27
	v_fmac_f16_e64 v135, 0x370e, v39
	v_fmac_f16_e32 v32, 0x370e, v27
	v_fmac_f16_e32 v122, 0x370e, v39
	;; [unrolled: 1-line block ×4, first 2 shown]
	v_fmamk_f16 v27, v111, 0xbcab, v29
	v_fmamk_f16 v39, v112, 0xbcab, v100
	v_fma_f16 v108, v129, 0xb9e0, -v108
	v_fmac_f16_e32 v125, 0x370e, v40
	v_fmac_f16_e32 v33, 0x370e, v40
	v_fmac_f16_e64 v128, 0x370e, v40
	v_add_f16_e32 v40, v102, v35
	v_add_f16_e32 v102, v103, v38
	v_fmac_f16_e32 v124, 0x370e, v31
	v_add_f16_e32 v103, v118, v35
	v_add_f16_e32 v104, v119, v38
	;; [unrolled: 1-line block ×6, first 2 shown]
	v_fmac_f16_e32 v126, 0x370e, v31
	v_fmac_f16_e32 v127, 0x370e, v31
	v_pack_b32_f16 v31, v98, v99
	v_add_f16_e32 v120, v37, v27
	v_add_f16_e32 v27, v107, v27
	v_add_f16_e64 v131, v108, v39
	v_add_f16_e64 v130, v106, v39
	;; [unrolled: 1-line block ×3, first 2 shown]
	v_sub_f16_e32 v110, v102, v121
	v_add_f16_e32 v38, v123, v105
	v_sub_f16_e32 v112, v101, v34
	v_add_f16_e32 v30, v125, v118
	v_sub_f16_e32 v106, v119, v124
	ds_store_b32 v72, v31
	v_sub_f16_e32 v35, v103, v122
	v_add_f16_e32 v111, v32, v104
	v_sub_f16_e32 v39, v105, v123
	v_add_f16_e64 v31, v128, v27
	v_sub_f16_e64 v105, v131, v127
	v_add_f16_e32 v36, v122, v103
	v_sub_f16_e32 v109, v104, v32
	v_sub_f16_e32 v32, v120, v33
	v_add_f16_e64 v104, v126, v130
	v_add_f16_e32 v108, v34, v101
	v_add_f16_e32 v33, v33, v120
	v_sub_f16_e64 v103, v130, v126
	v_pack_b32_f16 v129, v29, v100
	v_sub_f16_e64 v40, v40, v135
	v_add_f16_e32 v107, v121, v102
	v_sub_f16_e64 v34, v27, v128
	v_add_f16_e64 v102, v127, v131
	v_sub_f16_e32 v27, v118, v125
	v_add_f16_e32 v101, v124, v119
	v_pack_b32_f16 v118, v37, v110
	v_pack_b32_f16 v119, v38, v112
	;; [unrolled: 1-line block ×12, first 2 shown]
	ds_store_2addr_b32 v46, v129, v118 offset0:68 offset1:136
	ds_store_2addr_b32 v117, v124, v119 offset0:76 offset1:144
	;; [unrolled: 1-line block ×6, first 2 shown]
	ds_store_b32 v46, v130 offset:3536
	global_wb scope:SCOPE_SE
	s_wait_dscnt 0x0
	s_barrier_signal -1
	s_barrier_wait -1
	global_inv scope:SCOPE_SE
	s_and_saveexec_b32 s1, vcc_lo
	s_cbranch_execz .LBB0_13
; %bb.12:
	global_load_b32 v117, v42, s[12:13] offset:3808
	s_add_nc_u64 s[2:3], s[12:13], 0xee0
	s_clause 0xf
	global_load_b32 v133, v42, s[2:3] offset:224
	global_load_b32 v134, v42, s[2:3] offset:448
	global_load_b32 v135, v42, s[2:3] offset:672
	global_load_b32 v136, v42, s[2:3] offset:896
	global_load_b32 v137, v42, s[2:3] offset:1120
	global_load_b32 v138, v42, s[2:3] offset:1344
	global_load_b32 v139, v42, s[2:3] offset:1568
	global_load_b32 v140, v42, s[2:3] offset:1792
	global_load_b32 v141, v42, s[2:3] offset:2016
	global_load_b32 v142, v42, s[2:3] offset:2240
	global_load_b32 v143, v42, s[2:3] offset:2464
	global_load_b32 v144, v42, s[2:3] offset:2688
	global_load_b32 v145, v42, s[2:3] offset:2912
	global_load_b32 v146, v42, s[2:3] offset:3136
	global_load_b32 v147, v42, s[2:3] offset:3360
	global_load_b32 v148, v42, s[2:3] offset:3584
	ds_load_b32 v118, v72
	v_add_nc_u32_e32 v149, 0xc00, v46
	s_wait_dscnt 0x0
	v_lshrrev_b32_e32 v119, 16, v118
	s_wait_loadcnt 0xf
	v_lshrrev_b32_e32 v150, 16, v133
	s_wait_loadcnt 0xe
	;; [unrolled: 2-line block ×12, first 2 shown]
	v_lshrrev_b32_e32 v161, 16, v144
	v_lshrrev_b32_e32 v120, 16, v117
	s_wait_loadcnt 0x3
	v_lshrrev_b32_e32 v162, 16, v145
	s_wait_loadcnt 0x2
	;; [unrolled: 2-line block ×4, first 2 shown]
	v_lshrrev_b32_e32 v165, 16, v148
	v_mul_f16_e32 v121, v119, v120
	v_mul_f16_e32 v120, v118, v120
	s_delay_alu instid0(VALU_DEP_2) | instskip(NEXT) | instid1(VALU_DEP_2)
	v_fma_f16 v118, v118, v117, -v121
	v_fmac_f16_e32 v120, v119, v117
	s_delay_alu instid0(VALU_DEP_1)
	v_pack_b32_f16 v117, v118, v120
	ds_store_b32 v72, v117
	ds_load_2addr_b32 v[117:118], v46 offset0:56 offset1:112
	ds_load_2addr_b32 v[119:120], v46 offset0:168 offset1:224
	;; [unrolled: 1-line block ×8, first 2 shown]
	s_wait_dscnt 0x7
	v_lshrrev_b32_e32 v166, 16, v117
	v_lshrrev_b32_e32 v168, 16, v118
	s_wait_dscnt 0x6
	v_lshrrev_b32_e32 v170, 16, v119
	v_lshrrev_b32_e32 v172, 16, v120
	;; [unrolled: 3-line block ×5, first 2 shown]
	v_mul_f16_e64 v167, v117, v150
	v_mul_f16_e64 v169, v118, v151
	s_wait_dscnt 0x2
	v_lshrrev_b32_e32 v186, 16, v127
	v_lshrrev_b32_e32 v188, 16, v128
	s_wait_dscnt 0x1
	v_lshrrev_b32_e32 v190, 16, v129
	v_lshrrev_b32_e32 v192, 16, v130
	;; [unrolled: 3-line block ×3, first 2 shown]
	v_mul_f16_e64 v150, v166, v150
	v_mul_f16_e64 v151, v168, v151
	;; [unrolled: 1-line block ×24, first 2 shown]
	v_fmac_f16_e64 v167, v166, v133
	v_fmac_f16_e64 v169, v168, v134
	v_mul_f16_e64 v160, v186, v160
	v_mul_f16_e64 v161, v188, v161
	;; [unrolled: 1-line block ×6, first 2 shown]
	v_fma_f16 v117, v117, v133, -v150
	v_fma_f16 v118, v118, v134, -v151
	v_fmac_f16_e64 v171, v170, v135
	v_fmac_f16_e64 v173, v172, v136
	v_fma_f16 v119, v119, v135, -v152
	v_fma_f16 v120, v120, v136, -v153
	v_fmac_f16_e64 v175, v174, v137
	v_fmac_f16_e64 v177, v176, v138
	;; [unrolled: 4-line block ×5, first 2 shown]
	v_fmac_f16_e64 v191, v190, v145
	v_fmac_f16_e64 v193, v192, v146
	;; [unrolled: 1-line block ×4, first 2 shown]
	v_fma_f16 v127, v127, v143, -v160
	v_fma_f16 v128, v128, v144, -v161
	;; [unrolled: 1-line block ×6, first 2 shown]
	v_pack_b32_f16 v117, v117, v167
	v_pack_b32_f16 v118, v118, v169
	;; [unrolled: 1-line block ×16, first 2 shown]
	ds_store_2addr_b32 v46, v117, v118 offset0:56 offset1:112
	ds_store_2addr_b32 v46, v119, v120 offset0:168 offset1:224
	;; [unrolled: 1-line block ×8, first 2 shown]
.LBB0_13:
	s_wait_alu 0xfffe
	s_or_b32 exec_lo, exec_lo, s1
	global_wb scope:SCOPE_SE
	s_wait_dscnt 0x0
	s_barrier_signal -1
	s_barrier_wait -1
	global_inv scope:SCOPE_SE
	s_and_saveexec_b32 s1, vcc_lo
	s_cbranch_execz .LBB0_15
; %bb.14:
	v_add_nc_u32_e32 v21, 0x400, v72
	v_add_nc_u32_e32 v22, 0x600, v72
	;; [unrolled: 1-line block ×3, first 2 shown]
	ds_load_b32 v98, v72
	ds_load_2addr_b32 v[37:38], v72 offset0:56 offset1:112
	ds_load_2addr_b32 v[35:36], v72 offset0:168 offset1:224
	;; [unrolled: 1-line block ×4, first 2 shown]
	v_add_nc_u32_e32 v21, 0xa00, v72
	ds_load_2addr_b32 v[31:32], v22 offset0:120 offset1:176
	v_add_nc_u32_e32 v22, 0xc00, v72
	ds_load_2addr_b32 v[33:34], v27 offset0:104 offset1:160
	ds_load_2addr_b32 v[27:28], v21 offset0:88 offset1:144
	;; [unrolled: 1-line block ×3, first 2 shown]
	s_wait_dscnt 0x7
	v_lshrrev_b32_e32 v110, 16, v37
	v_lshrrev_b32_e32 v99, 16, v98
	;; [unrolled: 1-line block ×3, first 2 shown]
	s_wait_dscnt 0x6
	v_lshrrev_b32_e32 v111, 16, v35
	v_lshrrev_b32_e32 v109, 16, v36
	s_wait_dscnt 0x5
	v_lshrrev_b32_e32 v108, 16, v39
	v_lshrrev_b32_e32 v107, 16, v40
	;; [unrolled: 3-line block ×7, first 2 shown]
.LBB0_15:
	s_wait_alu 0xfffe
	s_or_b32 exec_lo, exec_lo, s1
	s_delay_alu instid0(VALU_DEP_1)
	v_sub_f16_e32 v123, v110, v48
	v_add_f16_e32 v126, v48, v110
	v_add_f16_e32 v121, v22, v37
	v_sub_f16_e32 v122, v37, v22
	v_sub_f16_e32 v127, v112, v89
	v_mul_f16_e64 v129, 0xb964, v123
	v_mul_f16_e64 v134, 0x39e9, v126
	v_add_f16_e64 v132, v89, v112
	v_mul_f16_e64 v140, 0xbb29, v123
	v_mul_f16_e64 v145, 0x3722, v126
	;; [unrolled: 1-line block ×3, first 2 shown]
	v_fma_f16 v113, v121, 0x39e9, -v129
	v_fma_f16 v114, 0xb964, v122, v134
	v_add_f16_e32 v124, v21, v38
	v_mul_f16_e64 v135, 0xbbf7, v127
	v_sub_f16_e32 v125, v38, v21
	v_mul_f16_e64 v139, 0x2de8, v132
	v_mul_f16_e64 v160, 0x2de8, v126
	v_fma_f16 v115, v121, 0x3722, -v140
	v_fma_f16 v116, 0xbb29, v122, v145
	v_fma_f16 v117, v121, 0x2de8, -v150
	v_add_f16_e32 v113, v98, v113
	v_add_f16_e32 v114, v99, v114
	v_mul_f16_e64 v167, 0xbbb2, v123
	v_mul_f16_e64 v147, 0xba62, v127
	v_fma_f16 v128, v124, 0x2de8, -v135
	v_fma_f16 v130, 0xbbf7, v125, v139
	v_mul_f16_e64 v155, 0xb8d2, v132
	v_mul_f16_e64 v161, 0xb1e1, v127
	v_fma_f16 v118, 0xbbf7, v122, v160
	v_add_f16_e32 v115, v98, v115
	v_add_f16_e32 v116, v99, v116
	v_add_f16_e32 v117, v98, v117
	v_mul_f16_e64 v177, 0xb461, v126
	v_fma_f16 v119, v121, 0xb461, -v167
	v_fma_f16 v131, v124, 0xb8d2, -v147
	v_add_f16_e64 v113, v128, v113
	v_add_f16_e64 v114, v130, v114
	v_mul_f16_e64 v173, 0xbbdd, v132
	v_fma_f16 v128, 0xba62, v125, v155
	v_mul_f16_e64 v179, 0x3836, v127
	v_fma_f16 v130, v124, 0xbbdd, -v161
	v_add_f16_e32 v118, v99, v118
	v_fma_f16 v120, 0xbbb2, v122, v177
	v_add_f16_e32 v119, v98, v119
	v_add_f16_e64 v115, v131, v115
	v_mul_f16_e64 v185, 0xbacd, v132
	v_fma_f16 v131, 0xb1e1, v125, v173
	v_add_f16_e64 v116, v128, v116
	v_fma_f16 v128, v124, 0xbacd, -v179
	v_add_f16_e64 v117, v130, v117
	v_sub_f16_e64 v130, v111, v93
	v_add_f16_e64 v138, v93, v111
	v_add_f16_e32 v120, v99, v120
	v_fma_f16 v133, 0x3836, v125, v185
	v_add_f16_e64 v118, v131, v118
	v_add_f16_e64 v119, v128, v119
	;; [unrolled: 1-line block ×3, first 2 shown]
	v_mul_f16_e64 v143, 0xba62, v130
	v_sub_f16_e64 v131, v35, v28
	v_mul_f16_e64 v148, 0xb8d2, v138
	v_mul_f16_e64 v157, 0x31e1, v130
	v_add_f16_e64 v120, v133, v120
	v_mul_f16_e64 v162, 0xbbdd, v138
	v_fma_f16 v133, v128, 0xb8d2, -v143
	v_mul_f16_e64 v171, 0x3bb2, v130
	v_fma_f16 v136, 0xba62, v131, v148
	v_fma_f16 v137, v128, 0xbbdd, -v157
	v_mul_f16_e64 v183, 0xb461, v138
	v_fma_f16 v141, 0x31e1, v131, v162
	v_add_f16_e64 v113, v133, v113
	v_fma_f16 v133, v128, 0xb461, -v171
	v_add_f16_e64 v114, v136, v114
	v_add_f16_e64 v115, v137, v115
	v_sub_f16_e64 v136, v109, v101
	v_mul_f16_e64 v189, 0x3964, v130
	v_mul_f16_e64 v195, 0x39e9, v138
	v_fma_f16 v137, 0x3bb2, v131, v183
	v_add_f16_e64 v146, v101, v109
	v_add_f16_e64 v116, v141, v116
	;; [unrolled: 1-line block ×4, first 2 shown]
	v_mul_f16_e64 v152, 0xb1e1, v136
	v_fma_f16 v141, v128, 0x39e9, -v189
	v_fma_f16 v142, 0x3964, v131, v195
	v_add_f16_e64 v118, v137, v118
	v_sub_f16_e64 v137, v36, v27
	v_mul_f16_e64 v158, 0xbbdd, v146
	v_mul_f16_e64 v169, 0x3bb2, v136
	v_fma_f16 v144, v133, 0xbbdd, -v152
	v_add_f16_e64 v119, v141, v119
	v_add_f16_e64 v120, v142, v120
	v_mul_f16_e64 v175, 0xb461, v146
	v_mul_f16_e64 v182, 0x35c8, v136
	v_fma_f16 v141, 0xb1e1, v137, v158
	v_mul_f16_e64 v190, 0x3b76, v146
	v_fma_f16 v142, v133, 0xb461, -v169
	v_add_f16_e64 v113, v144, v113
	v_fma_f16 v144, 0x3bb2, v137, v175
	v_fma_f16 v149, v133, 0x3b76, -v182
	v_add_f16_e64 v114, v141, v114
	v_fma_f16 v141, 0x35c8, v137, v190
	v_add_f16_e64 v115, v142, v115
	v_mul_f16_e64 v196, 0xbb29, v136
	v_sub_f16_e64 v142, v108, v102
	v_mul_f16_e64 v201, 0x3722, v146
	v_add_f16_e64 v154, v102, v108
	v_add_f16_e64 v116, v144, v116
	;; [unrolled: 1-line block ×4, first 2 shown]
	v_fma_f16 v149, v133, 0x3722, -v196
	v_add_f16_e64 v141, v34, v39
	v_sub_f16_e64 v144, v39, v34
	v_mul_f16_e64 v168, 0xbacd, v154
	v_fma_f16 v151, 0xbb29, v137, v201
	v_mul_f16_e64 v180, 0x3964, v142
	v_mul_f16_e64 v163, 0x3836, v142
	v_add_f16_e64 v119, v149, v119
	v_fma_f16 v149, 0x3836, v144, v168
	v_add_f16_e64 v120, v151, v120
	v_fma_f16 v151, v141, 0x39e9, -v180
	v_mul_f16_e64 v186, 0x39e9, v154
	v_mul_f16_e64 v192, 0xbb29, v142
	v_fma_f16 v153, v141, 0xbacd, -v163
	v_add_f16_e64 v114, v149, v114
	v_add_f16_e64 v115, v151, v115
	v_mul_f16_e64 v199, 0x3722, v154
	v_fma_f16 v149, 0x3964, v144, v186
	v_mul_f16_e64 v202, 0xb1e1, v142
	v_fma_f16 v151, v141, 0x3722, -v192
	v_add_f16_e64 v113, v153, v113
	v_mul_f16_e64 v206, 0xbbdd, v154
	v_fma_f16 v153, 0xbb29, v144, v199
	v_add_f16_e64 v116, v149, v116
	v_fma_f16 v149, v141, 0xbbdd, -v202
	v_add_f16_e64 v117, v151, v117
	v_sub_f16_e64 v151, v107, v103
	v_add_f16_e64 v165, v103, v107
	v_fma_f16 v156, 0xb1e1, v144, v206
	v_add_f16_e64 v118, v153, v118
	v_add_f16_e64 v119, v149, v119
	;; [unrolled: 1-line block ×3, first 2 shown]
	v_mul_f16_e64 v174, 0x3bb2, v151
	v_sub_f16_e64 v153, v40, v33
	v_mul_f16_e64 v181, 0xb461, v165
	v_add_f16_e64 v120, v156, v120
	v_mul_f16_e64 v187, 0xb5c8, v151
	v_fma_f16 v156, v149, 0xb461, -v174
	v_mul_f16_e64 v198, 0xb836, v151
	v_fma_f16 v159, 0x3bb2, v153, v181
	v_mul_f16_e64 v193, 0x3b76, v165
	v_fma_f16 v164, v149, 0x3b76, -v187
	v_add_f16_e64 v113, v156, v113
	v_fma_f16 v156, v149, 0xbacd, -v198
	v_add_f16_e64 v114, v159, v114
	v_mul_f16_e64 v205, 0xbacd, v165
	v_sub_f16_e64 v159, v100, v104
	v_mul_f16_e64 v211, 0x2de8, v165
	v_fma_f16 v166, 0xb5c8, v153, v193
	v_add_f16_e64 v115, v164, v115
	v_add_f16_e64 v117, v156, v117
	v_mul_f16_e64 v208, 0x3bf7, v151
	v_fma_f16 v164, 0xb836, v153, v205
	v_add_f16_e64 v156, v32, v29
	v_mul_f16_e64 v184, 0x3b29, v159
	v_fma_f16 v170, 0x3bf7, v153, v211
	v_add_f16_e64 v176, v104, v100
	v_mul_f16_e64 v197, 0xbbf7, v159
	v_mul_f16_e64 v204, 0x3a62, v159
	v_add_f16_e64 v116, v166, v116
	v_fma_f16 v166, v149, 0x2de8, -v208
	v_add_f16_e64 v118, v164, v118
	v_fma_f16 v172, v156, 0x3722, -v184
	v_add_f16_e64 v120, v170, v120
	v_sub_f16_e64 v164, v29, v32
	v_mul_f16_e64 v188, 0x3722, v176
	v_mul_f16_e64 v200, 0x2de8, v176
	v_fma_f16 v170, v156, 0x2de8, -v197
	v_fma_f16 v178, v156, 0xb8d2, -v204
	v_add_f16_e64 v119, v166, v119
	v_add_f16_e64 v113, v172, v113
	v_mul_f16_e64 v209, 0xb8d2, v176
	v_fma_f16 v166, 0x3b29, v164, v188
	v_fma_f16 v172, 0xbbf7, v164, v200
	v_add_f16_e64 v210, v170, v115
	v_add_f16_e64 v117, v178, v117
	v_mul_f16_e64 v212, 0xb5c8, v159
	v_sub_f16_e64 v170, v106, v105
	v_add_f16_e64 v178, v105, v106
	v_fma_f16 v191, 0x3a62, v164, v209
	v_add_f16_e64 v114, v166, v114
	v_add_f16_e64 v217, v172, v116
	v_mul_f16_e64 v215, 0x3b76, v176
	v_add_f16_e64 v166, v31, v30
	v_sub_f16_e64 v172, v30, v31
	v_mul_f16_e64 v194, 0x3b76, v178
	v_fma_f16 v115, v156, 0x3b76, -v212
	v_mul_f16_e64 v203, 0xb836, v170
	v_add_f16_e64 v218, v191, v118
	v_mul_f16_e64 v191, 0x35c8, v170
	v_fma_f16 v116, 0xb5c8, v164, v215
	v_fma_f16 v207, 0x35c8, v172, v194
	v_add_f16_e64 v219, v115, v119
	v_fma_f16 v119, v166, 0xbacd, -v203
	v_fma_f16 v118, v166, 0x3b76, -v191
	v_add_f16_e64 v220, v116, v120
	v_add_f16_e64 v115, v207, v114
	v_mul_f16_e64 v207, 0xbacd, v178
	v_add_f16_e64 v116, v119, v210
	v_mul_f16_e64 v210, 0x3964, v170
	v_mul_f16_e64 v213, 0x39e9, v178
	;; [unrolled: 1-line block ×4, first 2 shown]
	v_add_f16_e32 v113, v118, v113
	v_fma_f16 v114, 0xb836, v172, v207
	v_fma_f16 v118, v166, 0x39e9, -v210
	v_fma_f16 v120, 0x3964, v172, v213
	v_fma_f16 v221, v166, 0xb8d2, -v214
	v_fma_f16 v222, 0xba62, v172, v216
	v_add_f16_e64 v119, v114, v217
	v_add_f16_e32 v118, v118, v117
	v_add_f16_e64 v120, v120, v218
	v_add_f16_e64 v114, v221, v219
	;; [unrolled: 1-line block ×3, first 2 shown]
	global_wb scope:SCOPE_SE
	s_barrier_signal -1
	s_barrier_wait -1
	global_inv scope:SCOPE_SE
	s_and_saveexec_b32 s1, vcc_lo
	s_cbranch_execz .LBB0_17
; %bb.16:
	v_add_f16_e32 v37, v37, v98
	v_mul_f16_e64 v228, 0x3b29, v127
	v_mul_f16_e64 v236, 0x35c8, v125
	v_add_f16_e32 v110, v110, v99
	v_mul_f16_e64 v246, 0x35c8, v127
	v_add_f16_e32 v37, v38, v37
	v_fma_f16 v229, v124, 0x3722, -v228
	v_fmac_f16_e64 v228, 0x3722, v124
	v_fma_f16 v237, 0x3b76, v132, v236
	v_add_f16_e32 v110, v112, v110
	v_add_f16_e32 v35, v35, v37
	v_fma_f16 v247, v124, 0x3b76, -v246
	v_fma_f16 v236, v132, 0x3b76, -v236
	v_mul_f16_e64 v112, 0x35c8, v172
	v_add_f16_e32 v110, v111, v110
	v_add_f16_e32 v35, v36, v35
	v_mul_f16_e64 v111, 0x2de8, v146
	v_fmac_f16_e64 v246, 0x3b76, v124
	v_sub_f16_e64 v112, v194, v112
	v_add_f16_e32 v109, v109, v110
	v_add_f16_e32 v35, v39, v35
	v_mul_f16_e64 v110, 0x3b76, v166
	v_and_b32_e32 v47, 0xffff, v47
	s_delay_alu instid0(VALU_DEP_4) | instskip(NEXT) | instid1(VALU_DEP_4)
	v_add_f16_e32 v108, v108, v109
	v_add_f16_e32 v35, v40, v35
	v_mul_f16_e64 v109, 0xb461, v154
	v_add_f16_e64 v110, v110, v191
	v_lshl_add_u32 v47, v47, 2, v45
	v_add_f16_e32 v107, v107, v108
	v_add_f16_e32 v29, v29, v35
	v_mul_f16_e64 v108, 0xb8d2, v165
	s_delay_alu instid0(VALU_DEP_3) | instskip(NEXT) | instid1(VALU_DEP_3)
	v_add_f16_e32 v100, v100, v107
	v_add_f16_e32 v29, v30, v29
	v_mul_f16_e32 v107, 0xb5c8, v123
	s_delay_alu instid0(VALU_DEP_3) | instskip(NEXT) | instid1(VALU_DEP_3)
	v_add_f16_e32 v100, v106, v100
	v_add_f16_e32 v29, v31, v29
	v_mul_f16_e32 v31, 0x3bb2, v127
	v_mul_f16_e64 v106, 0xbacd, v176
	s_delay_alu instid0(VALU_DEP_4) | instskip(NEXT) | instid1(VALU_DEP_4)
	v_add_f16_e32 v100, v105, v100
	v_add_f16_e32 v29, v32, v29
	s_delay_alu instid0(VALU_DEP_4) | instskip(SKIP_4) | instid1(VALU_DEP_2)
	v_fma_f16 v32, v124, 0xb461, -v31
	v_fmac_f16_e32 v31, 0xb461, v124
	v_fma_f16 v105, v121, 0x3b76, -v107
	v_add_f16_e32 v100, v104, v100
	v_add_f16_e32 v29, v33, v29
	;; [unrolled: 1-line block ×3, first 2 shown]
	s_delay_alu instid0(VALU_DEP_2) | instskip(SKIP_1) | instid1(VALU_DEP_3)
	v_add_f16_e32 v29, v34, v29
	v_mul_f16_e32 v34, 0x3b29, v125
	v_add_f16_e32 v100, v102, v100
	s_delay_alu instid0(VALU_DEP_3) | instskip(NEXT) | instid1(VALU_DEP_3)
	v_add_f16_e32 v27, v27, v29
	v_fma_f16 v35, 0x3722, v132, v34
	v_fma_f16 v34, v132, 0x3722, -v34
	s_delay_alu instid0(VALU_DEP_4) | instskip(NEXT) | instid1(VALU_DEP_4)
	v_add_f16_e32 v100, v101, v100
	v_add_f16_e32 v27, v28, v27
	v_mul_f16_e32 v28, 0x3bb2, v125
	s_delay_alu instid0(VALU_DEP_3) | instskip(NEXT) | instid1(VALU_DEP_3)
	v_add_f16_e32 v93, v93, v100
	v_add_f16_e32 v21, v21, v27
	s_delay_alu instid0(VALU_DEP_3)
	v_fma_f16 v29, 0xb461, v132, v28
	v_fma_f16 v28, v132, 0xb461, -v28
	v_mul_f16_e64 v132, 0x39e9, v132
	v_add_f16_e32 v89, v89, v93
	v_add_f16_e32 v21, v22, v21
	v_mul_f16_e32 v22, 0xba62, v122
	s_delay_alu instid0(VALU_DEP_3) | instskip(NEXT) | instid1(VALU_DEP_2)
	v_add_f16_e32 v48, v48, v89
	v_fmamk_f16 v27, v126, 0xb8d2, v22
	v_fma_f16 v22, v126, 0xb8d2, -v22
	s_delay_alu instid0(VALU_DEP_3) | instskip(NEXT) | instid1(VALU_DEP_3)
	v_pack_b32_f16 v21, v21, v48
	v_add_f16_e32 v27, v99, v27
	s_delay_alu instid0(VALU_DEP_3) | instskip(NEXT) | instid1(VALU_DEP_2)
	v_add_f16_e32 v22, v99, v22
	v_add_f16_e32 v27, v29, v27
	v_mul_f16_e32 v29, 0xba62, v123
	s_delay_alu instid0(VALU_DEP_3) | instskip(NEXT) | instid1(VALU_DEP_2)
	v_add_f16_e32 v22, v28, v22
	v_fma_f16 v30, v121, 0xb8d2, -v29
	v_fmac_f16_e32 v29, 0xb8d2, v121
	s_delay_alu instid0(VALU_DEP_2) | instskip(NEXT) | instid1(VALU_DEP_2)
	v_add_f16_e32 v30, v98, v30
	v_add_f16_e32 v29, v98, v29
	s_delay_alu instid0(VALU_DEP_2) | instskip(SKIP_1) | instid1(VALU_DEP_3)
	v_add_f16_e32 v30, v32, v30
	v_mul_f16_e32 v32, 0xb836, v122
	v_add_f16_e32 v29, v31, v29
	s_delay_alu instid0(VALU_DEP_2) | instskip(SKIP_1) | instid1(VALU_DEP_2)
	v_fmamk_f16 v33, v126, 0xbacd, v32
	v_fma_f16 v32, v126, 0xbacd, -v32
	v_add_f16_e32 v33, v99, v33
	s_delay_alu instid0(VALU_DEP_2) | instskip(NEXT) | instid1(VALU_DEP_2)
	v_add_f16_e32 v32, v99, v32
	v_add_f16_e32 v33, v35, v33
	v_mul_f16_e64 v35, 0xb5c8, v131
	s_delay_alu instid0(VALU_DEP_3) | instskip(NEXT) | instid1(VALU_DEP_2)
	v_add_f16_e32 v32, v34, v32
	v_fma_f16 v36, 0x3b76, v138, v35
	v_fma_f16 v35, v138, 0x3b76, -v35
	s_delay_alu instid0(VALU_DEP_2) | instskip(SKIP_1) | instid1(VALU_DEP_3)
	v_add_f16_e32 v27, v36, v27
	v_mul_f16_e64 v36, 0xb5c8, v130
	v_add_f16_e32 v22, v35, v22
	s_delay_alu instid0(VALU_DEP_2) | instskip(SKIP_1) | instid1(VALU_DEP_2)
	v_fma_f16 v37, v128, 0x3b76, -v36
	v_fmac_f16_e64 v36, 0x3b76, v128
	v_add_f16_e32 v30, v37, v30
	v_mul_f16_e64 v37, 0xbbf7, v131
	s_delay_alu instid0(VALU_DEP_3) | instskip(NEXT) | instid1(VALU_DEP_2)
	v_add_f16_e32 v29, v36, v29
	v_fma_f16 v38, 0x2de8, v138, v37
	v_fma_f16 v37, v138, 0x2de8, -v37
	s_delay_alu instid0(VALU_DEP_2) | instskip(SKIP_1) | instid1(VALU_DEP_3)
	v_add_f16_e32 v33, v38, v33
	v_mul_f16_e64 v38, 0xb836, v137
	v_add_f16_e32 v32, v37, v32
	s_delay_alu instid0(VALU_DEP_2) | instskip(SKIP_2) | instid1(VALU_DEP_3)
	v_fma_f16 v39, 0xbacd, v146, v38
	v_fma_f16 v31, v146, 0xbacd, -v38
	v_mul_f16_e32 v38, 0xbbf7, v122
	v_add_f16_e32 v27, v39, v27
	v_mul_f16_e64 v39, 0xb836, v136
	s_delay_alu instid0(VALU_DEP_4) | instskip(NEXT) | instid1(VALU_DEP_4)
	v_add_f16_e32 v22, v31, v22
	v_sub_f16_e64 v38, v160, v38
	s_delay_alu instid0(VALU_DEP_3) | instskip(SKIP_1) | instid1(VALU_DEP_3)
	v_fma_f16 v40, v133, 0xbacd, -v39
	v_fmac_f16_e64 v39, 0xbacd, v133
	v_add_f16_e32 v38, v99, v38
	s_delay_alu instid0(VALU_DEP_3) | instskip(SKIP_1) | instid1(VALU_DEP_4)
	v_add_f16_e32 v30, v40, v30
	v_mul_f16_e64 v40, 0x3a62, v137
	v_add_f16_e32 v29, v39, v29
	v_mul_f16_e32 v39, 0xb1e1, v125
	s_delay_alu instid0(VALU_DEP_3) | instskip(SKIP_1) | instid1(VALU_DEP_3)
	v_fma_f16 v217, 0xb8d2, v146, v40
	v_fma_f16 v37, v146, 0xb8d2, -v40
	v_sub_f16_e64 v39, v173, v39
	s_delay_alu instid0(VALU_DEP_3) | instskip(SKIP_1) | instid1(VALU_DEP_4)
	v_add_f16_e64 v33, v217, v33
	v_mul_f16_e64 v217, 0x3bf7, v144
	v_add_f16_e32 v32, v37, v32
	s_delay_alu instid0(VALU_DEP_4) | instskip(SKIP_1) | instid1(VALU_DEP_4)
	v_add_f16_e32 v38, v39, v38
	v_mul_f16_e64 v39, 0x3bb2, v131
	v_fma_f16 v218, 0x2de8, v154, v217
	v_fma_f16 v31, v154, 0x2de8, -v217
	s_delay_alu instid0(VALU_DEP_3) | instskip(NEXT) | instid1(VALU_DEP_3)
	v_sub_f16_e64 v39, v183, v39
	v_add_f16_e64 v27, v218, v27
	v_mul_f16_e64 v218, 0x3bf7, v142
	s_delay_alu instid0(VALU_DEP_4)
	v_add_f16_e32 v22, v31, v22
	v_mul_f16_e32 v31, 0xbbb2, v122
	v_add_f16_e32 v38, v39, v38
	v_mul_f16_e64 v39, 0x35c8, v137
	v_fma_f16 v219, v141, 0x2de8, -v218
	v_fmac_f16_e64 v218, 0x2de8, v141
	v_sub_f16_e64 v31, v177, v31
	s_delay_alu instid0(VALU_DEP_4) | instskip(NEXT) | instid1(VALU_DEP_4)
	v_sub_f16_e64 v39, v190, v39
	v_add_f16_e64 v30, v219, v30
	v_mul_f16_e64 v219, 0xb5c8, v144
	s_delay_alu instid0(VALU_DEP_4)
	v_add_f16_e32 v31, v99, v31
	v_add_f16_e64 v29, v218, v29
	v_add_f16_e32 v38, v39, v38
	v_mul_f16_e64 v39, 0xbb29, v144
	v_fma_f16 v220, 0x3b76, v154, v219
	v_fma_f16 v37, v154, 0x3b76, -v219
	s_delay_alu instid0(VALU_DEP_3) | instskip(NEXT) | instid1(VALU_DEP_3)
	v_sub_f16_e64 v39, v199, v39
	v_add_f16_e64 v33, v220, v33
	v_mul_f16_e64 v220, 0xb964, v153
	s_delay_alu instid0(VALU_DEP_4) | instskip(NEXT) | instid1(VALU_DEP_4)
	v_add_f16_e32 v32, v37, v32
	v_add_f16_e32 v38, v39, v38
	v_mul_f16_e64 v39, 0xb836, v153
	s_delay_alu instid0(VALU_DEP_4) | instskip(SKIP_1) | instid1(VALU_DEP_3)
	v_fma_f16 v221, 0x39e9, v165, v220
	v_fma_f16 v35, v165, 0x39e9, -v220
	v_sub_f16_e64 v39, v205, v39
	s_delay_alu instid0(VALU_DEP_3) | instskip(SKIP_1) | instid1(VALU_DEP_4)
	v_add_f16_e64 v27, v221, v27
	v_mul_f16_e64 v221, 0xb964, v151
	v_add_f16_e32 v22, v35, v22
	v_mul_f16_e32 v35, 0x3836, v125
	v_add_f16_e32 v38, v39, v38
	v_mul_f16_e64 v39, 0x3a62, v164
	v_fma_f16 v222, v149, 0x39e9, -v221
	v_fmac_f16_e64 v221, 0x39e9, v149
	v_sub_f16_e64 v35, v185, v35
	s_delay_alu instid0(VALU_DEP_4) | instskip(NEXT) | instid1(VALU_DEP_4)
	v_sub_f16_e64 v39, v209, v39
	v_add_f16_e64 v30, v222, v30
	v_mul_f16_e64 v222, 0xb1e1, v164
	s_delay_alu instid0(VALU_DEP_4)
	v_add_f16_e32 v31, v35, v31
	v_mul_f16_e64 v35, 0x3964, v131
	v_add_f16_e32 v38, v39, v38
	v_mul_f16_e64 v39, 0x3964, v172
	v_fma_f16 v223, 0xbbdd, v176, v222
	v_fma_f16 v36, v176, 0xbbdd, -v222
	v_sub_f16_e64 v35, v195, v35
	v_add_f16_e64 v29, v221, v29
	v_sub_f16_e64 v39, v213, v39
	v_add_f16_e64 v27, v223, v27
	v_mul_f16_e64 v223, 0xb1e1, v159
	v_add_f16_e32 v22, v36, v22
	v_add_f16_e32 v31, v35, v31
	v_mul_f16_e64 v35, 0xbb29, v137
	v_add_f16_e32 v38, v39, v38
	v_fma_f16 v224, v156, 0xbbdd, -v223
	v_mul_f16_e32 v39, 0x3722, v121
	v_fmac_f16_e64 v223, 0xbbdd, v156
	v_sub_f16_e64 v35, v201, v35
	s_delay_alu instid0(VALU_DEP_4) | instskip(SKIP_2) | instid1(VALU_DEP_4)
	v_add_f16_e64 v30, v224, v30
	v_mul_f16_e64 v224, 0x3b29, v172
	v_add_f16_e64 v39, v39, v140
	v_add_f16_e32 v31, v35, v31
	v_mul_f16_e64 v35, 0xb1e1, v144
	v_mul_f16_e64 v140, 0x31e1, v131
	v_fma_f16 v225, 0x3722, v178, v224
	v_fma_f16 v36, v178, 0x3722, -v224
	v_add_f16_e32 v39, v98, v39
	v_sub_f16_e64 v35, v206, v35
	v_sub_f16_e64 v140, v162, v140
	v_add_f16_e64 v27, v225, v27
	v_mul_f16_e64 v225, 0xb1e1, v153
	v_add_f16_e32 v22, v36, v22
	v_mul_f16_e32 v36, 0xb461, v121
	v_add_f16_e32 v31, v35, v31
	v_mul_f16_e64 v35, 0x3bf7, v153
	v_fma_f16 v226, 0xbbdd, v165, v225
	v_fma_f16 v37, v165, 0xbbdd, -v225
	v_add_f16_e64 v36, v36, v167
	v_add_f16_e64 v29, v223, v29
	v_sub_f16_e64 v35, v211, v35
	v_add_f16_e64 v33, v226, v33
	v_mul_f16_e64 v226, 0xb836, v123
	v_add_f16_e32 v32, v37, v32
	v_add_f16_e32 v36, v98, v36
	v_add_f16_e32 v31, v35, v31
	v_mul_f16_e64 v35, 0xb5c8, v164
	v_fma_f16 v227, v121, 0xbacd, -v226
	v_fmac_f16_e64 v226, 0xbacd, v121
	s_delay_alu instid0(VALU_DEP_3) | instskip(NEXT) | instid1(VALU_DEP_3)
	v_sub_f16_e64 v35, v215, v35
	v_add_f16_e64 v227, v98, v227
	s_delay_alu instid0(VALU_DEP_3) | instskip(NEXT) | instid1(VALU_DEP_3)
	v_add_f16_e64 v37, v98, v226
	v_add_f16_e32 v31, v35, v31
	s_delay_alu instid0(VALU_DEP_3) | instskip(SKIP_1) | instid1(VALU_DEP_4)
	v_add_f16_e64 v227, v229, v227
	v_mul_f16_e64 v229, 0x3b29, v170
	v_add_f16_e64 v37, v228, v37
	v_mul_f16_e64 v35, 0xba62, v172
	s_delay_alu instid0(VALU_DEP_3) | instskip(SKIP_1) | instid1(VALU_DEP_3)
	v_fma_f16 v230, v166, 0x3722, -v229
	v_fmac_f16_e64 v229, 0x3722, v166
	v_sub_f16_e64 v35, v216, v35
	s_delay_alu instid0(VALU_DEP_3) | instskip(SKIP_1) | instid1(VALU_DEP_3)
	v_add_f16_e64 v30, v230, v30
	v_mul_f16_e64 v230, 0x3964, v164
	v_add_f16_e32 v31, v35, v31
	v_mul_f16_e32 v35, 0x2de8, v121
	v_add_f16_e64 v29, v229, v29
	v_pack_b32_f16 v27, v30, v27
	v_fma_f16 v231, 0x39e9, v176, v230
	v_fma_f16 v40, v176, 0x39e9, -v230
	v_add_f16_e64 v35, v35, v150
	v_pack_b32_f16 v22, v29, v22
	v_perm_b32 v30, v120, v118, 0x5040100
	v_add_f16_e64 v33, v231, v33
	v_mul_f16_e64 v231, 0xbbf7, v130
	v_add_f16_e32 v32, v40, v32
	v_add_f16_e32 v35, v98, v35
	s_delay_alu instid0(VALU_DEP_3) | instskip(SKIP_1) | instid1(VALU_DEP_2)
	v_fma_f16 v232, v128, 0x2de8, -v231
	v_fmac_f16_e64 v231, 0x2de8, v128
	v_add_f16_e64 v227, v232, v227
	v_mul_f16_e64 v232, 0x3a62, v136
	s_delay_alu instid0(VALU_DEP_3) | instskip(NEXT) | instid1(VALU_DEP_2)
	v_add_f16_e64 v37, v231, v37
	v_fma_f16 v233, v133, 0xb8d2, -v232
	v_fmac_f16_e64 v232, 0xb8d2, v133
	s_delay_alu instid0(VALU_DEP_2) | instskip(SKIP_1) | instid1(VALU_DEP_3)
	v_add_f16_e64 v227, v233, v227
	v_mul_f16_e64 v233, 0xb5c8, v142
	v_add_f16_e64 v37, v232, v37
	s_delay_alu instid0(VALU_DEP_2) | instskip(SKIP_1) | instid1(VALU_DEP_2)
	v_fma_f16 v234, v141, 0x3b76, -v233
	v_fmac_f16_e64 v233, 0x3b76, v141
	v_add_f16_e64 v227, v234, v227
	s_delay_alu instid0(VALU_DEP_2) | instskip(SKIP_2) | instid1(VALU_DEP_2)
	v_add_f16_e64 v28, v233, v37
	v_mul_f16_e32 v37, 0xbacd, v124
	v_mul_f16_e64 v234, 0xb1e1, v122
	v_add_f16_e64 v37, v37, v179
	s_delay_alu instid0(VALU_DEP_2) | instskip(SKIP_2) | instid1(VALU_DEP_4)
	v_fma_f16 v235, 0xbbdd, v126, v234
	v_fma_f16 v234, v126, 0xbbdd, -v234
	v_mul_f16_e32 v126, 0x3b76, v126
	v_add_f16_e32 v36, v37, v36
	v_mul_f16_e64 v37, 0x39e9, v128
	v_add_f16_e64 v235, v99, v235
	v_add_f16_e64 v234, v99, v234
	s_delay_alu instid0(VALU_DEP_3) | instskip(NEXT) | instid1(VALU_DEP_3)
	v_add_f16_e64 v37, v37, v189
	v_add_f16_e64 v235, v237, v235
	v_mul_f16_e64 v237, 0xb1e1, v151
	s_delay_alu instid0(VALU_DEP_4)
	v_add_f16_e64 v234, v236, v234
	v_mul_f16_e64 v236, 0xba62, v142
	v_add_f16_e32 v36, v37, v36
	v_mul_f16_e64 v37, 0x3722, v133
	v_fma_f16 v238, v149, 0xbbdd, -v237
	v_fmac_f16_e64 v237, 0xbbdd, v149
	s_delay_alu instid0(VALU_DEP_3) | instskip(NEXT) | instid1(VALU_DEP_3)
	v_add_f16_e64 v37, v37, v196
	v_add_f16_e64 v227, v238, v227
	v_mul_f16_e64 v238, 0xb836, v131
	s_delay_alu instid0(VALU_DEP_4) | instskip(NEXT) | instid1(VALU_DEP_4)
	v_add_f16_e64 v28, v237, v28
	v_add_f16_e32 v36, v37, v36
	v_mul_f16_e64 v37, 0xbbdd, v141
	s_delay_alu instid0(VALU_DEP_4) | instskip(SKIP_1) | instid1(VALU_DEP_3)
	v_fma_f16 v239, 0xbacd, v138, v238
	v_fma_f16 v238, v138, 0xbacd, -v238
	v_add_f16_e64 v37, v37, v202
	s_delay_alu instid0(VALU_DEP_3) | instskip(SKIP_1) | instid1(VALU_DEP_4)
	v_add_f16_e64 v235, v239, v235
	v_mul_f16_e64 v239, 0xbbb2, v172
	v_add_f16_e64 v234, v238, v234
	v_mul_f16_e64 v238, 0x3bf7, v172
	v_add_f16_e32 v36, v37, v36
	v_mul_f16_e64 v37, 0x2de8, v149
	v_fma_f16 v40, v178, 0xb461, -v239
	v_fma_f16 v240, 0xb461, v178, v239
	s_delay_alu instid0(VALU_DEP_3) | instskip(NEXT) | instid1(VALU_DEP_3)
	v_add_f16_e64 v37, v37, v208
	v_add_f16_e32 v32, v40, v32
	v_mul_f16_e32 v40, 0xbbdd, v124
	s_delay_alu instid0(VALU_DEP_4) | instskip(SKIP_4) | instid1(VALU_DEP_4)
	v_add_f16_e64 v33, v240, v33
	v_mul_f16_e64 v240, 0x3964, v159
	v_add_f16_e32 v36, v37, v36
	v_mul_f16_e64 v37, 0x3b76, v156
	v_add_f16_e64 v40, v40, v161
	v_fma_f16 v241, v156, 0x39e9, -v240
	v_fmac_f16_e64 v240, 0x39e9, v156
	s_delay_alu instid0(VALU_DEP_4) | instskip(NEXT) | instid1(VALU_DEP_4)
	v_add_f16_e64 v37, v37, v212
	v_add_f16_e32 v35, v40, v35
	v_mul_f16_e64 v40, 0xb461, v128
	v_add_f16_e64 v227, v241, v227
	v_mul_f16_e64 v241, 0x3964, v137
	v_add_f16_e32 v36, v37, v36
	v_mul_f16_e64 v37, 0xb8d2, v166
	v_add_f16_e64 v40, v40, v171
	v_add_f16_e64 v28, v240, v28
	v_fma_f16 v242, 0x39e9, v146, v241
	v_fma_f16 v241, v146, 0x39e9, -v241
	v_add_f16_e64 v37, v37, v214
	v_add_f16_e32 v35, v40, v35
	v_mul_f16_e64 v40, 0x3b76, v133
	v_add_f16_e64 v235, v242, v235
	v_mul_f16_e64 v242, 0xba62, v144
	v_add_f16_e32 v36, v37, v36
	v_mul_f16_e32 v37, 0xbb29, v122
	v_add_f16_e64 v40, v40, v182
	v_add_f16_e64 v234, v241, v234
	v_fma_f16 v243, 0xb8d2, v154, v242
	v_fma_f16 v242, v154, 0xb8d2, -v242
	v_sub_f16_e64 v37, v145, v37
	v_mul_f16_e64 v145, 0xba62, v125
	v_add_f16_e32 v35, v40, v35
	v_mul_f16_e64 v40, 0x3722, v141
	v_add_f16_e64 v235, v243, v235
	v_add_f16_e32 v37, v99, v37
	v_sub_f16_e64 v145, v155, v145
	v_mul_f16_e64 v243, 0x3b29, v153
	v_add_f16_e64 v40, v40, v192
	v_add_f16_e64 v234, v242, v234
	v_mul_f16_e64 v241, 0xbbb2, v159
	v_add_f16_e64 v37, v145, v37
	v_mul_f16_e64 v145, 0xb8d2, v124
	v_add_f16_e32 v35, v40, v35
	v_mul_f16_e64 v40, 0xbacd, v149
	v_fma_f16 v244, 0x3722, v165, v243
	v_add_f16_e64 v37, v140, v37
	v_add_f16_e64 v145, v145, v147
	v_mul_f16_e64 v147, 0xb964, v122
	v_mul_f16_e64 v140, 0x3bb2, v137
	v_add_f16_e64 v40, v40, v198
	v_add_f16_e64 v235, v244, v235
	v_mul_f16_e64 v244, 0xb1e1, v123
	v_sub_f16_e64 v134, v134, v147
	v_mul_f16_e64 v147, 0xbbf7, v125
	v_sub_f16_e64 v140, v175, v140
	v_add_f16_e32 v35, v40, v35
	v_mul_f16_e64 v40, 0xb8d2, v156
	v_add_f16_e64 v134, v99, v134
	v_sub_f16_e64 v139, v139, v147
	v_mul_f16_e64 v147, 0x39e9, v121
	v_add_f16_e64 v37, v140, v37
	v_mul_f16_e64 v140, 0x3964, v144
	v_add_f16_e64 v40, v40, v204
	v_add_f16_e64 v134, v139, v134
	v_mul_f16_e64 v139, 0xba62, v131
	v_add_f16_e64 v129, v147, v129
	v_mul_f16_e64 v147, 0x2de8, v124
	v_sub_f16_e64 v140, v186, v140
	v_add_f16_e32 v35, v40, v35
	v_sub_f16_e64 v139, v148, v139
	v_add_f16_e64 v129, v98, v129
	v_add_f16_e64 v135, v147, v135
	;; [unrolled: 1-line block ×3, first 2 shown]
	v_mul_f16_e64 v140, 0xb5c8, v153
	v_add_f16_e64 v134, v139, v134
	v_mul_f16_e64 v139, 0xb1e1, v137
	v_add_f16_e64 v129, v135, v129
	v_mul_f16_e64 v135, 0xb8d2, v128
	v_mul_f16_e64 v40, 0x39e9, v166
	v_sub_f16_e64 v140, v193, v140
	v_sub_f16_e64 v139, v158, v139
	v_fma_f16 v245, v121, 0xbbdd, -v244
	v_add_f16_e64 v135, v135, v143
	v_add_f16_e64 v40, v40, v210
	;; [unrolled: 1-line block ×4, first 2 shown]
	v_mul_f16_e64 v139, 0x3836, v144
	v_mul_f16_e64 v140, 0xbbf7, v164
	v_add_f16_e64 v129, v135, v129
	v_mul_f16_e64 v135, 0xbbdd, v133
	v_add_f16_e64 v245, v98, v245
	v_sub_f16_e64 v139, v168, v139
	v_sub_f16_e64 v140, v200, v140
	v_add_f16_e32 v35, v40, v35
	v_add_f16_e64 v135, v135, v152
	v_add_f16_e64 v245, v247, v245
	;; [unrolled: 1-line block ×3, first 2 shown]
	v_mul_f16_e64 v139, 0x3bb2, v153
	v_mul_f16_e64 v247, 0xbbb2, v170
	v_add_f16_e64 v37, v140, v37
	v_mul_f16_e64 v140, 0xb836, v172
	v_add_f16_e64 v129, v135, v129
	v_sub_f16_e64 v139, v181, v139
	v_mul_f16_e64 v135, 0x3b29, v164
	v_fma_f16 v248, v166, 0xb461, -v247
	v_sub_f16_e64 v140, v207, v140
	v_add_f16_e64 v39, v145, v39
	v_add_f16_e64 v40, v139, v134
	v_mul_f16_e64 v134, 0xbacd, v141
	v_sub_f16_e64 v135, v188, v135
	v_fma_f16 v139, 0x35c8, v122, v126
	v_mul_f16_e64 v145, 0xbbdd, v128
	v_add_f16_e64 v227, v248, v227
	v_add_f16_e64 v134, v134, v163
	v_mul_f16_e64 v248, 0xbbb2, v164
	v_add_f16_e64 v37, v140, v37
	v_add_f16_e64 v139, v99, v139
	v_fma_f16 v140, 0x3964, v125, v132
	v_add_f16_e64 v129, v134, v129
	v_mul_f16_e64 v134, 0xb461, v149
	v_add_f16_e64 v40, v135, v40
	v_mul_f16_e64 v135, 0x3722, v138
	v_add_f16_e64 v145, v145, v157
	v_fma_f16 v249, 0xb461, v176, v248
	v_add_f16_e64 v134, v134, v174
	v_add_f16_e64 v139, v140, v139
	v_fma_f16 v138, 0x3b29, v131, v135
	v_add_f16_e64 v39, v145, v39
	v_mul_f16_e64 v145, 0xb461, v133
	v_add_f16_e64 v129, v134, v129
	v_mul_f16_e64 v134, 0x3722, v156
	;; [unrolled: 2-line block ×3, first 2 shown]
	v_add_f16_e64 v138, v138, v139
	v_fma_f16 v139, 0x3bf7, v137, v111
	v_add_f16_e64 v134, v134, v184
	v_fmac_f16_e32 v126, 0xb5c8, v122
	v_add_f16_e64 v145, v145, v169
	v_fma_f16 v250, v128, 0xbacd, -v249
	v_fma_f16 v243, v165, 0x3722, -v243
	v_fmac_f16_e64 v244, 0xbbdd, v121
	v_add_f16_e64 v138, v139, v138
	v_add_f16_e64 v129, v134, v129
	v_fma_f16 v134, 0x3bb2, v144, v109
	v_mul_f16_e32 v123, 0xb964, v127
	v_fmamk_f16 v127, v121, 0x3b76, v107
	v_add_f16_e32 v99, v99, v126
	v_fmac_f16_e64 v132, 0xb964, v125
	v_add_f16_e64 v39, v145, v39
	v_mul_f16_e64 v145, 0x39e9, v141
	v_add_f16_e64 v245, v250, v245
	v_mul_f16_e64 v250, 0x3964, v136
	v_add_f16_e64 v234, v243, v234
	v_add_f16_e64 v243, v98, v244
	;; [unrolled: 1-line block ×3, first 2 shown]
	v_add_f16_e32 v40, v112, v40
	v_add_f16_e64 v110, v110, v129
	v_fma_f16 v112, 0x3a62, v153, v108
	v_add_f16_e32 v127, v98, v127
	v_fma_f16 v129, 0x39e9, v124, v123
	v_mul_f16_e64 v107, 0xbb29, v130
	v_add_f16_e64 v99, v132, v99
	v_fmac_f16_e64 v135, 0xbb29, v131
	v_add_f16_e32 v98, v98, v105
	v_fma_f16 v104, v124, 0x39e9, -v123
	v_add_f16_e64 v145, v145, v180
	v_fma_f16 v251, v133, 0x39e9, -v250
	v_add_f16_e64 v112, v112, v134
	v_add_f16_e64 v127, v129, v127
	v_fma_f16 v122, 0x3836, v164, v106
	v_fma_f16 v121, 0x3722, v128, v107
	v_mul_f16_e64 v105, 0xbbf7, v136
	v_add_f16_e64 v99, v135, v99
	v_fmac_f16_e64 v111, 0xbbf7, v137
	v_add_f16_e32 v98, v104, v98
	v_fma_f16 v103, v128, 0x3722, -v107
	v_add_f16_e64 v39, v145, v39
	v_mul_f16_e64 v145, 0x3b76, v149
	v_add_f16_e64 v245, v251, v245
	v_fma_f16 v251, v141, 0xb8d2, -v236
	v_add_f16_e64 v243, v246, v243
	v_fma_f16 v244, v176, 0xb461, -v248
	v_fmac_f16_e64 v249, 0xbacd, v128
	v_add_f16_e32 v112, v122, v112
	v_add_f16_e32 v121, v121, v127
	v_fma_f16 v122, 0x2de8, v133, v105
	v_mul_f16_e64 v104, 0xbbb2, v142
	v_add_f16_e32 v99, v111, v99
	v_fmac_f16_e64 v109, 0xbbb2, v144
	v_add_f16_e32 v98, v103, v98
	v_fma_f16 v102, v133, 0x2de8, -v105
	v_add_f16_e64 v145, v145, v187
	v_add_f16_e64 v245, v251, v245
	v_fma_f16 v251, 0x2de8, v178, v238
	v_add_f16_e64 v234, v244, v234
	v_add_f16_e64 v243, v249, v243
	v_fma_f16 v238, v178, 0x2de8, -v238
	v_fmac_f16_e64 v250, 0x39e9, v133
	v_add_f16_e32 v121, v122, v121
	v_fma_f16 v107, 0xb461, v141, v104
	v_add_f16_e32 v99, v109, v99
	v_fmac_f16_e64 v108, 0xba62, v153
	v_add_f16_e32 v98, v102, v98
	v_fma_f16 v101, v141, 0xb461, -v104
	v_mul_f16_e64 v102, 0xba62, v151
	v_add_f16_e64 v39, v145, v39
	v_mul_f16_e64 v145, 0x2de8, v156
	v_add_f16_e64 v235, v251, v235
	;; [unrolled: 2-line block ×3, first 2 shown]
	v_add_f16_e64 v238, v250, v243
	v_fmac_f16_e64 v236, 0xb8d2, v141
	v_add_f16_e32 v107, v107, v121
	v_fma_f16 v104, 0xb8d2, v149, v102
	v_add_f16_e32 v99, v108, v99
	v_fmac_f16_e64 v106, 0xb836, v164
	v_add_f16_e32 v98, v101, v98
	v_mul_f16_e64 v101, 0xb836, v159
	v_add_f16_e64 v145, v145, v197
	v_fma_f16 v252, v149, 0x3722, -v251
	v_add_f16_e64 v34, v236, v238
	v_fmac_f16_e64 v251, 0x3722, v149
	v_mul_f16_e64 v103, 0xbbdd, v178
	v_add_f16_e32 v104, v104, v107
	v_fma_f16 v100, v149, 0xb8d2, -v102
	v_fma_f16 v102, 0xbacd, v156, v101
	v_add_f16_e32 v93, v106, v99
	v_mul_f16_e64 v99, 0xb1e1, v170
	v_add_f16_e64 v39, v145, v39
	v_mul_f16_e64 v145, 0xbacd, v166
	v_add_f16_e64 v245, v252, v245
	v_fma_f16 v252, v156, 0xb461, -v241
	v_mul_f16_e64 v242, 0x3bf7, v170
	v_add_f16_e64 v34, v251, v34
	v_fmac_f16_e64 v241, 0xb461, v156
	v_fma_f16 v105, 0x31e1, v172, v103
	v_add_f16_e32 v102, v102, v104
	v_fma_f16 v104, 0xbbdd, v166, v99
	v_add_f16_e64 v145, v145, v203
	v_fmac_f16_e64 v247, 0xb461, v166
	v_fmac_f16_e64 v103, 0xb1e1, v172
	v_add_f16_e32 v98, v100, v98
	v_fma_f16 v100, v156, 0xbacd, -v101
	v_add_f16_e64 v245, v252, v245
	v_fma_f16 v252, v166, 0x2de8, -v242
	v_add_f16_e64 v34, v241, v34
	v_fmac_f16_e64 v242, 0x2de8, v166
	v_add_f16_e32 v105, v105, v112
	v_add_f16_e32 v101, v104, v102
	v_add_f16_e64 v39, v145, v39
	v_add_f16_e64 v28, v247, v28
	v_add_f16_e32 v89, v103, v93
	v_add_f16_e32 v93, v100, v98
	v_fma_f16 v98, v166, 0xbbdd, -v99
	v_add_f16_e64 v245, v252, v245
	v_add_f16_e64 v34, v242, v34
	v_pack_b32_f16 v99, v101, v105
	v_pack_b32_f16 v37, v39, v37
	;; [unrolled: 1-line block ×6, first 2 shown]
	v_add_f16_e32 v29, v98, v93
	ds_store_2addr_b32 v47, v21, v99 offset1:1
	ds_store_2addr_b32 v47, v39, v37 offset0:2 offset1:3
	ds_store_2addr_b32 v47, v35, v31 offset0:4 offset1:5
	;; [unrolled: 1-line block ×3, first 2 shown]
	v_pack_b32_f16 v21, v245, v235
	v_pack_b32_f16 v22, v34, v234
	;; [unrolled: 1-line block ×3, first 2 shown]
	v_perm_b32 v31, v117, v114, 0x5040100
	v_perm_b32 v32, v115, v113, 0x5040100
	;; [unrolled: 1-line block ×3, first 2 shown]
	v_pack_b32_f16 v29, v29, v89
	ds_store_2addr_b32 v47, v22, v21 offset0:8 offset1:9
	ds_store_2addr_b32 v47, v28, v27 offset0:10 offset1:11
	;; [unrolled: 1-line block ×4, first 2 shown]
	ds_store_b32 v47, v29 offset:64
.LBB0_17:
	s_wait_alu 0xfffe
	s_or_b32 exec_lo, exec_lo, s1
	v_add_nc_u32_e32 v29, 0x600, v49
	v_add_nc_u32_e32 v30, 0x800, v49
	;; [unrolled: 1-line block ×4, first 2 shown]
	global_wb scope:SCOPE_SE
	s_wait_dscnt 0x0
	s_barrier_signal -1
	s_barrier_wait -1
	global_inv scope:SCOPE_SE
	ds_load_2addr_b32 v[27:28], v49 offset1:68
	ds_load_2addr_b32 v[21:22], v49 offset0:136 offset1:238
	ds_load_2addr_b32 v[35:36], v29 offset0:92 offset1:160
	;; [unrolled: 1-line block ×5, first 2 shown]
	s_and_saveexec_b32 s1, s0
	s_cbranch_execz .LBB0_19
; %bb.18:
	ds_load_b32 v114, v49 offset:816
	ds_load_b32 v118, v49 offset:1768
	;; [unrolled: 1-line block ×4, first 2 shown]
	s_wait_dscnt 0x3
	v_lshrrev_b32_e32 v117, 16, v114
	s_wait_dscnt 0x2
	v_lshrrev_b32_e32 v120, 16, v118
	;; [unrolled: 2-line block ×4, first 2 shown]
.LBB0_19:
	s_wait_alu 0xfffe
	s_or_b32 exec_lo, exec_lo, s1
	s_wait_dscnt 0x4
	v_lshrrev_b32_e32 v39, 16, v22
	s_wait_dscnt 0x3
	v_lshrrev_b32_e32 v40, 16, v35
	;; [unrolled: 2-line block ×3, first 2 shown]
	v_lshrrev_b32_e32 v93, 16, v36
	s_wait_dscnt 0x0
	v_lshrrev_b32_e32 v98, 16, v29
	v_mul_f16_e32 v99, v71, v39
	v_lshrrev_b32_e32 v89, 16, v33
	v_mul_f16_e32 v104, v69, v47
	v_lshrrev_b32_e32 v102, 16, v31
	v_lshrrev_b32_e32 v101, 16, v34
	v_fmac_f16_e32 v99, v17, v22
	v_mul_f16_e32 v22, v71, v22
	v_mul_f16_e32 v71, v70, v40
	;; [unrolled: 1-line block ×4, first 2 shown]
	v_fmac_f16_e32 v104, v19, v32
	v_fma_f16 v17, v17, v39, -v22
	v_fmac_f16_e32 v71, v18, v35
	v_fma_f16 v18, v18, v40, -v70
	v_mul_f16_e32 v35, v67, v93
	v_mul_f16_e32 v40, v63, v98
	;; [unrolled: 1-line block ×5, first 2 shown]
	v_fmac_f16_e32 v35, v15, v36
	v_fmac_f16_e32 v40, v16, v29
	v_mul_f16_e32 v29, v63, v29
	v_mul_f16_e32 v36, v60, v102
	v_lshrrev_b32_e32 v103, 16, v30
	v_fmac_f16_e32 v22, v14, v33
	v_fma_f16 v14, v14, v89, -v32
	v_fma_f16 v15, v15, v93, -v39
	v_mul_f16_e32 v32, v61, v101
	v_mul_f16_e32 v33, v61, v34
	;; [unrolled: 1-line block ×3, first 2 shown]
	v_lshrrev_b32_e32 v38, 16, v27
	v_fma_f16 v19, v19, v47, -v69
	v_fma_f16 v16, v16, v98, -v29
	v_fmac_f16_e32 v36, v12, v31
	v_sub_f16_e32 v29, v27, v71
	v_sub_f16_e32 v31, v99, v104
	v_fmac_f16_e32 v32, v11, v34
	v_fma_f16 v11, v11, v101, -v33
	v_fma_f16 v12, v12, v102, -v39
	v_mul_f16_e32 v33, v58, v103
	v_mul_f16_e32 v39, v58, v30
	v_sub_f16_e32 v18, v38, v18
	v_sub_f16_e32 v19, v17, v19
	v_lshrrev_b32_e32 v48, 16, v28
	v_fma_f16 v27, v27, 2.0, -v29
	v_fma_f16 v34, v99, 2.0, -v31
	v_lshrrev_b32_e32 v100, 16, v21
	v_fmac_f16_e32 v33, v13, v30
	v_fma_f16 v13, v13, v103, -v39
	v_fma_f16 v38, v38, 2.0, -v18
	v_fma_f16 v17, v17, 2.0, -v19
	v_sub_f16_e32 v30, v27, v34
	v_sub_f16_e32 v34, v28, v35
	;; [unrolled: 1-line block ×10, first 2 shown]
	v_add_f16_e32 v19, v29, v19
	v_sub_f16_e32 v31, v18, v31
	v_fma_f16 v28, v28, 2.0, -v34
	v_fma_f16 v22, v22, 2.0, -v35
	;; [unrolled: 1-line block ×12, first 2 shown]
	v_sub_f16_e32 v22, v28, v22
	v_sub_f16_e32 v14, v39, v14
	v_add_f16_e32 v16, v34, v16
	v_sub_f16_e32 v35, v15, v35
	v_sub_f16_e32 v32, v21, v32
	;; [unrolled: 1-line block ×3, first 2 shown]
	v_add_f16_e32 v13, v36, v13
	v_sub_f16_e32 v33, v12, v33
	v_pack_b32_f16 v27, v27, v38
	v_pack_b32_f16 v18, v29, v18
	v_fma_f16 v28, v28, 2.0, -v22
	v_fma_f16 v39, v39, 2.0, -v14
	;; [unrolled: 1-line block ×8, first 2 shown]
	v_add_nc_u32_e32 v37, 0x110, v46
	global_wb scope:SCOPE_SE
	s_barrier_signal -1
	s_barrier_wait -1
	global_inv scope:SCOPE_SE
	ds_store_2addr_b32 v55, v27, v18 offset1:17
	v_pack_b32_f16 v17, v30, v17
	v_pack_b32_f16 v18, v19, v31
	;; [unrolled: 1-line block ×10, first 2 shown]
	ds_store_2addr_b32 v55, v17, v18 offset0:34 offset1:51
	ds_store_2addr_b32 v54, v19, v15 offset1:17
	ds_store_2addr_b32 v54, v14, v16 offset0:34 offset1:51
	ds_store_2addr_b32 v53, v21, v12 offset1:17
	ds_store_2addr_b32 v53, v11, v13 offset0:34 offset1:51
	s_and_saveexec_b32 s1, s0
	s_cbranch_execz .LBB0_21
; %bb.20:
	v_mul_f16_e32 v11, v56, v119
	v_mul_f16_e32 v12, v52, v118
	;; [unrolled: 1-line block ×6, first 2 shown]
	v_fmac_f16_e32 v11, v9, v116
	v_fma_f16 v12, v8, v120, -v12
	v_fmac_f16_e32 v14, v8, v118
	v_fmac_f16_e32 v15, v10, v113
	v_fma_f16 v8, v9, v119, -v13
	v_fma_f16 v9, v10, v115, -v16
	v_sub_f16_e32 v10, v114, v11
	v_and_b32_e32 v16, 0xffff, v50
	v_sub_f16_e32 v11, v14, v15
	v_sub_f16_e32 v8, v117, v8
	;; [unrolled: 1-line block ×3, first 2 shown]
	v_fma_f16 v13, v114, 2.0, -v10
	v_lshl_add_u32 v16, v16, 2, v45
	v_fma_f16 v14, v14, 2.0, -v11
	v_fma_f16 v15, v117, 2.0, -v8
	;; [unrolled: 1-line block ×3, first 2 shown]
	v_add_f16_e32 v9, v10, v9
	v_sub_f16_e32 v11, v8, v11
	v_sub_f16_e32 v14, v13, v14
	s_delay_alu instid0(VALU_DEP_4) | instskip(NEXT) | instid1(VALU_DEP_4)
	v_sub_f16_e32 v12, v15, v12
	v_fma_f16 v10, v10, 2.0, -v9
	s_delay_alu instid0(VALU_DEP_4) | instskip(NEXT) | instid1(VALU_DEP_4)
	v_fma_f16 v8, v8, 2.0, -v11
	v_fma_f16 v13, v13, 2.0, -v14
	v_pack_b32_f16 v9, v9, v11
	v_fma_f16 v15, v15, 2.0, -v12
	s_delay_alu instid0(VALU_DEP_4) | instskip(SKIP_1) | instid1(VALU_DEP_3)
	v_pack_b32_f16 v8, v10, v8
	v_pack_b32_f16 v10, v14, v12
	;; [unrolled: 1-line block ×3, first 2 shown]
	ds_store_2addr_b32 v16, v13, v8 offset1:17
	ds_store_2addr_b32 v16, v10, v9 offset0:34 offset1:51
.LBB0_21:
	s_wait_alu 0xfffe
	s_or_b32 exec_lo, exec_lo, s1
	v_add_nc_u32_e32 v21, 0x600, v49
	global_wb scope:SCOPE_SE
	s_wait_dscnt 0x0
	s_barrier_signal -1
	s_barrier_wait -1
	global_inv scope:SCOPE_SE
	ds_load_2addr_b32 v[10:11], v21 offset0:92 offset1:160
	v_add_nc_u32_e32 v27, 0x800, v49
	v_add_nc_u32_e32 v30, 0x400, v49
	;; [unrolled: 1-line block ×4, first 2 shown]
	ds_load_2addr_b32 v[8:9], v49 offset1:68
	ds_load_b32 v28, v49 offset:544
	ds_load_b32 v29, v49 offset:2448
	ds_load_2addr_b32 v[12:13], v22 offset0:76 offset1:144
	ds_load_2addr_b32 v[14:15], v27 offset0:168 offset1:236
	;; [unrolled: 1-line block ×4, first 2 shown]
	global_wb scope:SCOPE_SE
	s_wait_dscnt 0x0
	s_barrier_signal -1
	s_barrier_wait -1
	global_inv scope:SCOPE_SE
	v_lshrrev_b32_e32 v36, 16, v10
	v_lshrrev_b32_e32 v38, 16, v11
	v_mul_f16_e32 v51, v78, v10
	v_lshrrev_b32_e32 v34, 16, v28
	s_delay_alu instid0(VALU_DEP_4)
	v_mul_f16_e32 v52, v78, v36
	v_lshrrev_b32_e32 v40, 16, v14
	v_lshrrev_b32_e32 v35, 16, v29
	v_mul_f16_e32 v54, v78, v38
	v_lshrrev_b32_e32 v47, 16, v15
	v_fmac_f16_e32 v52, v57, v10
	v_mul_f16_e32 v10, v78, v11
	v_mul_f16_e32 v56, v81, v40
	v_fma_f16 v36, v57, v36, -v51
	v_fmac_f16_e32 v54, v57, v11
	v_mul_f16_e32 v11, v83, v35
	v_mul_f16_e32 v51, v83, v29
	v_fma_f16 v10, v57, v38, -v10
	v_mul_f16_e32 v38, v81, v14
	v_lshrrev_b32_e32 v55, 16, v19
	v_fmac_f16_e32 v56, v65, v14
	v_mul_f16_e32 v14, v82, v47
	v_lshrrev_b32_e32 v50, 16, v18
	v_fmac_f16_e32 v11, v66, v29
	v_fma_f16 v29, v66, v35, -v51
	v_fma_f16 v35, v65, v40, -v38
	v_mul_f16_e32 v38, v82, v15
	v_lshrrev_b32_e32 v32, 16, v8
	v_fmac_f16_e32 v14, v64, v15
	v_mul_f16_e32 v15, v79, v55
	v_lshrrev_b32_e32 v33, 16, v9
	v_mul_f16_e32 v40, v80, v50
	v_mul_f16_e32 v51, v80, v18
	v_fma_f16 v38, v64, v47, -v38
	v_mul_f16_e32 v47, v79, v19
	v_fmac_f16_e32 v15, v59, v19
	v_sub_f16_e32 v19, v8, v52
	v_sub_f16_e32 v36, v32, v36
	v_lshrrev_b32_e32 v39, 16, v12
	v_fmac_f16_e32 v40, v62, v18
	v_fma_f16 v18, v62, v50, -v51
	v_sub_f16_e32 v50, v9, v54
	v_sub_f16_e32 v10, v33, v10
	v_lshrrev_b32_e32 v45, 16, v13
	v_lshrrev_b32_e32 v48, 16, v16
	v_lshrrev_b32_e32 v53, 16, v17
	v_fma_f16 v47, v59, v55, -v47
	v_fma_f16 v8, v8, 2.0, -v19
	v_fma_f16 v32, v32, 2.0, -v36
	v_sub_f16_e32 v11, v28, v11
	v_sub_f16_e32 v29, v34, v29
	v_fma_f16 v9, v9, 2.0, -v50
	v_fma_f16 v33, v33, 2.0, -v10
	v_sub_f16_e32 v51, v12, v56
	v_sub_f16_e32 v35, v39, v35
	;; [unrolled: 1-line block ×8, first 2 shown]
	v_fma_f16 v28, v28, 2.0, -v11
	v_fma_f16 v34, v34, 2.0, -v29
	v_pack_b32_f16 v8, v8, v32
	v_pack_b32_f16 v19, v19, v36
	v_fma_f16 v12, v12, 2.0, -v51
	v_fma_f16 v39, v39, 2.0, -v35
	v_pack_b32_f16 v9, v9, v33
	v_pack_b32_f16 v10, v50, v10
	v_fma_f16 v13, v13, 2.0, -v14
	v_fma_f16 v45, v45, 2.0, -v38
	v_fma_f16 v16, v16, 2.0, -v40
	v_fma_f16 v48, v48, 2.0, -v18
	v_fma_f16 v17, v17, 2.0, -v15
	v_fma_f16 v52, v53, 2.0, -v47
	ds_store_2addr_b32 v49, v8, v19 offset1:68
	ds_store_2addr_b32 v49, v9, v10 offset0:136 offset1:204
	v_pack_b32_f16 v8, v28, v34
	v_pack_b32_f16 v9, v11, v29
	v_add_nc_u32_e32 v10, 0x400, v77
	v_pack_b32_f16 v11, v12, v39
	v_pack_b32_f16 v12, v51, v35
	v_add_nc_u32_e32 v19, 0x400, v73
	;; [unrolled: 3-line block ×5, first 2 shown]
	ds_store_2addr_b32 v10, v8, v9 offset0:16 offset1:84
	ds_store_2addr_b32 v19, v11, v12 offset0:152 offset1:220
	;; [unrolled: 1-line block ×5, first 2 shown]
	global_wb scope:SCOPE_SE
	s_wait_dscnt 0x0
	s_barrier_signal -1
	s_barrier_wait -1
	global_inv scope:SCOPE_SE
	ds_load_2addr_b32 v[8:9], v49 offset1:68
	ds_load_b32 v28, v49 offset:544
	ds_load_2addr_b32 v[10:11], v22 offset0:76 offset1:144
	ds_load_2addr_b32 v[12:13], v30 offset0:84 offset1:152
	;; [unrolled: 1-line block ×5, first 2 shown]
	ds_load_b32 v21, v49 offset:2448
	s_wait_dscnt 0x7
	v_lshrrev_b32_e32 v22, 16, v8
	s_wait_dscnt 0x6
	v_lshrrev_b32_e32 v27, 16, v28
	;; [unrolled: 2-line block ×6, first 2 shown]
	v_mul_f16_e32 v45, v97, v27
	v_mul_f16_e32 v47, v97, v28
	;; [unrolled: 1-line block ×4, first 2 shown]
	s_wait_dscnt 0x1
	v_lshrrev_b32_e32 v33, 16, v18
	v_lshrrev_b32_e32 v35, 16, v10
	v_fmac_f16_e32 v45, v4, v28
	v_fma_f16 v4, v4, v27, -v47
	v_fmac_f16_e32 v48, v5, v11
	v_fma_f16 v5, v5, v29, -v49
	v_mul_f16_e32 v11, v95, v30
	v_mul_f16_e32 v27, v95, v13
	;; [unrolled: 1-line block ×5, first 2 shown]
	v_lshrrev_b32_e32 v36, 16, v12
	v_lshrrev_b32_e32 v38, 16, v14
	s_wait_dscnt 0x0
	v_lshrrev_b32_e32 v39, 16, v21
	v_fmac_f16_e32 v11, v6, v13
	v_fma_f16 v6, v6, v30, -v27
	v_fmac_f16_e32 v28, v7, v15
	v_fma_f16 v7, v7, v31, -v29
	v_fmac_f16_e32 v47, v23, v16
	v_mul_f16_e32 v13, v92, v16
	v_mul_f16_e32 v15, v91, v33
	;; [unrolled: 1-line block ×5, first 2 shown]
	v_lshrrev_b32_e32 v40, 16, v17
	v_lshrrev_b32_e32 v50, 16, v19
	v_fma_f16 v13, v23, v32, -v13
	v_fmac_f16_e32 v15, v24, v18
	v_fma_f16 v16, v24, v33, -v16
	v_fmac_f16_e32 v27, v0, v10
	v_fma_f16 v0, v0, v35, -v29
	v_mul_f16_e32 v10, v88, v36
	v_mul_f16_e32 v18, v88, v12
	;; [unrolled: 1-line block ×5, first 2 shown]
	v_fmac_f16_e32 v10, v1, v12
	v_fma_f16 v1, v1, v36, -v18
	v_fmac_f16_e32 v23, v2, v14
	v_fma_f16 v2, v2, v38, -v24
	v_fmac_f16_e32 v29, v3, v21
	v_mul_f16_e32 v12, v86, v21
	v_mul_f16_e32 v14, v85, v40
	;; [unrolled: 1-line block ×5, first 2 shown]
	v_fma_f16 v3, v3, v39, -v12
	v_fmac_f16_e32 v14, v25, v17
	v_fma_f16 v12, v25, v40, -v18
	v_fmac_f16_e32 v21, v26, v19
	v_fma_f16 v17, v26, v50, -v24
	v_add_f16_e32 v18, v45, v15
	v_add_f16_e32 v19, v4, v16
	v_sub_f16_e32 v4, v4, v16
	v_add_f16_e32 v16, v48, v47
	v_add_f16_e32 v24, v5, v13
	v_sub_f16_e32 v15, v45, v15
	v_sub_f16_e32 v25, v48, v47
	;; [unrolled: 1-line block ×3, first 2 shown]
	v_add_f16_e32 v13, v11, v28
	v_add_f16_e32 v26, v6, v7
	v_sub_f16_e32 v11, v28, v11
	v_sub_f16_e32 v6, v7, v6
	v_add_f16_e32 v7, v16, v18
	v_add_f16_e32 v28, v24, v19
	v_sub_f16_e32 v30, v16, v18
	v_sub_f16_e32 v31, v24, v19
	;; [unrolled: 1-line block ×6, first 2 shown]
	v_add_f16_e32 v32, v11, v25
	v_add_f16_e32 v33, v6, v5
	v_sub_f16_e32 v35, v11, v25
	v_sub_f16_e32 v36, v6, v5
	;; [unrolled: 1-line block ×3, first 2 shown]
	v_add_f16_e32 v7, v13, v7
	v_add_f16_e32 v13, v26, v28
	v_sub_f16_e32 v5, v5, v4
	v_sub_f16_e32 v11, v15, v11
	;; [unrolled: 1-line block ×3, first 2 shown]
	v_add_f16_e32 v15, v32, v15
	v_add_f16_e32 v4, v33, v4
	;; [unrolled: 1-line block ×4, first 2 shown]
	v_mul_f16_e32 v18, 0x3a52, v18
	v_mul_f16_e32 v19, 0x3a52, v19
	;; [unrolled: 1-line block ×8, first 2 shown]
	v_fmamk_f16 v7, v7, 0xbcab, v8
	v_fmamk_f16 v13, v13, 0xbcab, v22
	;; [unrolled: 1-line block ×4, first 2 shown]
	v_fma_f16 v26, v30, 0x39e0, -v26
	v_fma_f16 v28, v31, 0x39e0, -v28
	;; [unrolled: 1-line block ×4, first 2 shown]
	v_fmamk_f16 v30, v11, 0xb574, v32
	v_fmamk_f16 v31, v6, 0xb574, v33
	v_fma_f16 v5, v5, 0xbb00, -v33
	v_fma_f16 v11, v11, 0x3574, -v35
	;; [unrolled: 1-line block ×4, first 2 shown]
	v_add_f16_e32 v16, v16, v7
	v_add_f16_e32 v24, v24, v13
	;; [unrolled: 1-line block ×6, first 2 shown]
	v_fmac_f16_e32 v30, 0xb70e, v15
	v_fmac_f16_e32 v31, 0xb70e, v4
	v_fmac_f16_e32 v6, 0xb70e, v4
	v_fmac_f16_e32 v11, 0xb70e, v15
	v_fmac_f16_e32 v5, 0xb70e, v4
	v_fmac_f16_e32 v25, 0xb70e, v15
	v_add_f16_e32 v4, v31, v16
	v_sub_f16_e32 v15, v24, v30
	v_add_f16_e32 v18, v6, v7
	v_sub_f16_e32 v19, v13, v11
	v_sub_f16_e32 v32, v26, v5
	v_add_f16_e32 v5, v5, v26
	v_sub_f16_e32 v6, v7, v6
	v_add_f16_e32 v7, v11, v13
	;; [unrolled: 2-line block ×3, first 2 shown]
	v_add_f16_e32 v16, v27, v21
	v_add_f16_e32 v24, v0, v17
	v_sub_f16_e32 v0, v0, v17
	v_add_f16_e32 v17, v10, v14
	v_add_f16_e32 v26, v1, v12
	v_sub_f16_e32 v21, v27, v21
	v_sub_f16_e32 v10, v10, v14
	;; [unrolled: 1-line block ×3, first 2 shown]
	v_add_f16_e32 v12, v23, v29
	v_add_f16_e32 v14, v2, v3
	v_sub_f16_e32 v23, v29, v23
	v_sub_f16_e32 v2, v3, v2
	v_add_f16_e32 v3, v17, v16
	v_add_f16_e32 v27, v26, v24
	v_lshrrev_b32_e32 v34, 16, v9
	v_add_f16_e32 v33, v25, v28
	v_sub_f16_e32 v25, v28, v25
	v_sub_f16_e32 v28, v17, v16
	;; [unrolled: 1-line block ×7, first 2 shown]
	v_add_f16_e32 v30, v23, v10
	v_add_f16_e32 v31, v2, v1
	v_sub_f16_e32 v36, v2, v1
	v_add_f16_e32 v3, v12, v3
	v_add_f16_e32 v12, v14, v27
	v_sub_f16_e32 v1, v1, v0
	v_sub_f16_e32 v35, v23, v10
	;; [unrolled: 1-line block ×5, first 2 shown]
	v_add_f16_e32 v14, v30, v21
	v_add_f16_e32 v9, v9, v3
	;; [unrolled: 1-line block ×3, first 2 shown]
	v_mul_f16_e32 v16, 0x3a52, v16
	v_mul_f16_e32 v24, 0x3a52, v24
	v_mul_f16_e32 v27, 0x2b26, v17
	v_mul_f16_e32 v30, 0x2b26, v26
	v_mul_f16_e32 v34, 0x3846, v36
	v_mul_f16_e32 v36, 0xbb00, v1
	v_add_f16_e32 v0, v31, v0
	v_mul_f16_e32 v31, 0x3846, v35
	v_mul_f16_e32 v35, 0xbb00, v10
	v_fmamk_f16 v3, v3, 0xbcab, v9
	v_fmamk_f16 v17, v17, 0x2b26, v16
	;; [unrolled: 1-line block ×3, first 2 shown]
	v_fma_f16 v27, v28, 0x39e0, -v27
	v_fma_f16 v30, v29, 0x39e0, -v30
	;; [unrolled: 1-line block ×4, first 2 shown]
	v_fmamk_f16 v29, v2, 0xb574, v34
	v_fma_f16 v1, v1, 0xbb00, -v34
	v_fma_f16 v2, v2, 0x3574, -v36
	v_fmamk_f16 v12, v12, 0xbcab, v21
	v_fmamk_f16 v28, v23, 0xb574, v31
	v_fma_f16 v23, v23, 0x3574, -v35
	v_fma_f16 v10, v10, 0xbb00, -v31
	v_add_f16_e32 v17, v17, v3
	v_add_f16_e32 v27, v27, v3
	v_add_f16_e32 v3, v16, v3
	v_fmac_f16_e32 v2, 0xb70e, v0
	v_fmac_f16_e32 v1, 0xb70e, v0
	v_add_f16_e32 v26, v26, v12
	v_add_f16_e32 v30, v30, v12
	;; [unrolled: 1-line block ×3, first 2 shown]
	v_fmac_f16_e32 v28, 0xb70e, v14
	v_fmac_f16_e32 v29, 0xb70e, v0
	;; [unrolled: 1-line block ×4, first 2 shown]
	v_add_f16_e32 v16, v2, v3
	v_sub_f16_e32 v31, v27, v1
	v_add_f16_e32 v1, v1, v27
	v_sub_f16_e32 v27, v3, v2
	v_pack_b32_f16 v8, v8, v22
	v_pack_b32_f16 v18, v18, v19
	;; [unrolled: 1-line block ×3, first 2 shown]
	v_add_nc_u32_e32 v3, 0x400, v46
	v_pack_b32_f16 v5, v5, v25
	v_pack_b32_f16 v6, v6, v7
	v_add_nc_u32_e32 v2, 0x800, v46
	v_add_f16_e32 v0, v29, v17
	v_sub_f16_e32 v14, v26, v28
	v_sub_f16_e32 v24, v12, v23
	v_add_f16_e32 v34, v10, v30
	v_sub_f16_e32 v10, v30, v10
	v_add_f16_e32 v12, v23, v12
	;; [unrolled: 2-line block ×3, first 2 shown]
	ds_store_b32 v72, v8
	ds_store_2addr_b32 v3, v18, v19 offset0:16 offset1:152
	ds_store_2addr_b32 v2, v5, v6 offset0:32 offset1:168
	v_pack_b32_f16 v5, v11, v13
	v_pack_b32_f16 v4, v4, v15
	;; [unrolled: 1-line block ×5, first 2 shown]
	v_add_nc_u32_e32 v9, 0x200, v37
	v_pack_b32_f16 v11, v31, v34
	v_pack_b32_f16 v1, v1, v10
	v_add_nc_u32_e32 v10, 0x600, v37
	v_pack_b32_f16 v12, v27, v12
	v_pack_b32_f16 v7, v17, v7
	v_add_nc_u32_e32 v13, 0xa00, v37
	ds_store_b32 v46, v5 offset:3264
	ds_store_2addr_b32 v46, v6, v4 offset0:68 offset1:136
	ds_store_2addr_b32 v9, v0, v8 offset0:8 offset1:144
	;; [unrolled: 1-line block ×4, first 2 shown]
	global_wb scope:SCOPE_SE
	s_wait_dscnt 0x0
	s_barrier_signal -1
	s_barrier_wait -1
	global_inv scope:SCOPE_SE
	s_and_b32 exec_lo, exec_lo, vcc_lo
	s_cbranch_execz .LBB0_23
; %bb.22:
	global_load_b32 v0, v42, s[12:13]
	ds_load_b32 v1, v72
	s_mov_b32 s8, 0x1135c811
	s_mov_b32 s9, 0x3f5135c8
	v_mad_co_u64_u32 v[8:9], null, s4, v44, 0
	s_wait_dscnt 0x0
	v_lshrrev_b32_e32 v4, 16, v1
	s_wait_loadcnt 0x0
	v_lshrrev_b32_e32 v5, 16, v0
	s_delay_alu instid0(VALU_DEP_1) | instskip(SKIP_1) | instid1(VALU_DEP_2)
	v_mul_f16_e32 v6, v4, v5
	v_mul_f16_e32 v5, v1, v5
	v_fmac_f16_e32 v6, v1, v0
	s_delay_alu instid0(VALU_DEP_2) | instskip(NEXT) | instid1(VALU_DEP_2)
	v_fma_f16 v0, v0, v4, -v5
	v_cvt_f32_f16_e32 v1, v6
	s_delay_alu instid0(VALU_DEP_2) | instskip(SKIP_1) | instid1(VALU_DEP_3)
	v_cvt_f32_f16_e32 v4, v0
	v_mad_co_u64_u32 v[6:7], null, s6, v20, 0
	v_cvt_f64_f32_e32 v[0:1], v1
	s_delay_alu instid0(VALU_DEP_3) | instskip(SKIP_1) | instid1(VALU_DEP_2)
	v_cvt_f64_f32_e32 v[4:5], v4
	s_wait_alu 0xfffe
	v_mul_f64_e32 v[0:1], s[8:9], v[0:1]
	s_delay_alu instid0(VALU_DEP_2) | instskip(NEXT) | instid1(VALU_DEP_2)
	v_mul_f64_e32 v[4:5], s[8:9], v[4:5]
	v_and_or_b32 v0, 0x1ff, v1, v0
	s_delay_alu instid0(VALU_DEP_2)
	v_and_or_b32 v4, 0x1ff, v5, v4
	v_lshrrev_b32_e32 v10, 8, v1
	v_bfe_u32 v12, v1, 20, 11
	v_lshrrev_b32_e32 v11, 8, v5
	v_cmp_ne_u32_e32 vcc_lo, 0, v0
	v_bfe_u32 v13, v5, 20, 11
	v_mov_b32_e32 v0, v9
	v_sub_nc_u32_e32 v15, 0x3f1, v12
	v_add_nc_u32_e32 v12, 0xfffffc10, v12
	v_cndmask_b32_e64 v14, 0, 1, vcc_lo
	v_cmp_ne_u32_e32 vcc_lo, 0, v4
	v_sub_nc_u32_e32 v16, 0x3f1, v13
	v_med3_i32 v15, v15, 0, 13
	v_lshrrev_b32_e32 v5, 16, v5
	v_and_or_b32 v14, 0xffe, v10, v14
	s_wait_alu 0xfffd
	v_cndmask_b32_e64 v4, 0, 1, vcc_lo
	v_mad_co_u64_u32 v[9:10], null, s7, v20, v[7:8]
	v_med3_i32 v16, v16, 0, 13
	v_or_b32_e32 v17, 0x1000, v14
	s_delay_alu instid0(VALU_DEP_4) | instskip(SKIP_1) | instid1(VALU_DEP_4)
	v_and_or_b32 v4, 0xffe, v11, v4
	s_mul_u64 s[6:7], s[4:5], 0xe0
	v_mov_b32_e32 v7, v9
	s_delay_alu instid0(VALU_DEP_2) | instskip(SKIP_3) | instid1(VALU_DEP_4)
	v_or_b32_e32 v18, 0x1000, v4
	v_mad_co_u64_u32 v[10:11], null, s5, v44, v[0:1]
	v_lshrrev_b32_e32 v0, v15, v17
	v_lshrrev_b32_e32 v1, 16, v1
	;; [unrolled: 1-line block ×3, first 2 shown]
	v_lshlrev_b64_e32 v[6:7], 2, v[6:7]
	s_delay_alu instid0(VALU_DEP_4) | instskip(NEXT) | instid1(VALU_DEP_3)
	v_lshlrev_b32_e32 v15, v15, v0
	v_dual_mov_b32 v9, v10 :: v_dual_lshlrev_b32 v10, v16, v11
	v_lshl_or_b32 v16, v12, 12, v14
	s_delay_alu instid0(VALU_DEP_3) | instskip(NEXT) | instid1(VALU_DEP_3)
	v_cmp_ne_u32_e32 vcc_lo, v15, v17
	v_lshlrev_b64_e32 v[8:9], 2, v[8:9]
	s_wait_alu 0xfffd
	v_cndmask_b32_e64 v15, 0, 1, vcc_lo
	v_cmp_ne_u32_e32 vcc_lo, v10, v18
	s_delay_alu instid0(VALU_DEP_2) | instskip(SKIP_4) | instid1(VALU_DEP_3)
	v_or_b32_e32 v0, v0, v15
	s_wait_alu 0xfffd
	v_cndmask_b32_e64 v10, 0, 1, vcc_lo
	v_cmp_gt_i32_e32 vcc_lo, 1, v12
	v_add_nc_u32_e32 v13, 0xfffffc10, v13
	v_or_b32_e32 v10, v11, v10
	s_wait_alu 0xfffd
	v_cndmask_b32_e32 v0, v16, v0, vcc_lo
	s_delay_alu instid0(VALU_DEP_3) | instskip(SKIP_2) | instid1(VALU_DEP_2)
	v_lshl_or_b32 v15, v13, 12, v4
	v_cmp_gt_i32_e32 vcc_lo, 1, v13
	s_wait_alu 0xfffd
	v_cndmask_b32_e32 v10, v15, v10, vcc_lo
	v_cmp_ne_u32_e32 vcc_lo, 0, v14
	v_and_b32_e32 v14, 7, v0
	v_lshrrev_b32_e32 v0, 2, v0
	s_wait_alu 0xfffd
	v_cndmask_b32_e64 v11, 0, 1, vcc_lo
	v_cmp_ne_u32_e32 vcc_lo, 0, v4
	v_cmp_eq_u32_e64 s0, 3, v14
	s_delay_alu instid0(VALU_DEP_3) | instskip(SKIP_3) | instid1(VALU_DEP_2)
	v_lshl_or_b32 v11, v11, 9, 0x7c00
	s_wait_alu 0xfffd
	v_cndmask_b32_e64 v4, 0, 1, vcc_lo
	v_cmp_lt_i32_e32 vcc_lo, 5, v14
	v_lshl_or_b32 v4, v4, 9, 0x7c00
	s_or_b32 vcc_lo, s0, vcc_lo
	s_wait_alu 0xfffe
	v_add_co_ci_u32_e32 v0, vcc_lo, 0, v0, vcc_lo
	v_and_b32_e32 v15, 7, v10
	v_lshrrev_b32_e32 v10, 2, v10
	s_delay_alu instid0(VALU_DEP_2) | instskip(SKIP_1) | instid1(VALU_DEP_1)
	v_cmp_lt_i32_e64 s1, 5, v15
	v_cmp_eq_u32_e64 s2, 3, v15
	s_or_b32 vcc_lo, s2, s1
	s_wait_alu 0xfffe
	v_add_co_ci_u32_e32 v10, vcc_lo, 0, v10, vcc_lo
	v_cmp_gt_i32_e32 vcc_lo, 31, v12
	s_wait_alu 0xfffd
	v_cndmask_b32_e32 v0, 0x7c00, v0, vcc_lo
	v_cmp_gt_i32_e32 vcc_lo, 31, v13
	s_wait_alu 0xfffd
	v_cndmask_b32_e32 v10, 0x7c00, v10, vcc_lo
	v_cmp_eq_u32_e32 vcc_lo, 0x40f, v12
	s_wait_alu 0xfffd
	v_cndmask_b32_e32 v0, v0, v11, vcc_lo
	v_cmp_eq_u32_e32 vcc_lo, 0x40f, v13
	s_wait_alu 0xfffd
	v_cndmask_b32_e32 v4, v10, v4, vcc_lo
	s_delay_alu instid0(VALU_DEP_3)
	v_and_or_b32 v10, 0x8000, v1, v0
	v_add_co_u32 v0, vcc_lo, s14, v6
	s_wait_alu 0xfffd
	v_add_co_ci_u32_e32 v1, vcc_lo, s15, v7, vcc_lo
	v_and_or_b32 v6, 0x8000, v5, v4
	v_and_b32_e32 v7, 0xffff, v10
	v_add_co_u32 v4, vcc_lo, v0, v8
	s_wait_alu 0xfffd
	v_add_co_ci_u32_e32 v5, vcc_lo, v1, v9, vcc_lo
	s_delay_alu instid0(VALU_DEP_3)
	v_lshl_or_b32 v6, v6, 16, v7
	global_store_b32 v[4:5], v6, off
	global_load_b32 v8, v42, s[12:13] offset:224
	ds_load_2addr_b32 v[6:7], v46 offset0:56 offset1:112
	s_wait_dscnt 0x0
	v_lshrrev_b32_e32 v9, 16, v6
	s_wait_loadcnt 0x0
	v_lshrrev_b32_e32 v10, 16, v8
	s_delay_alu instid0(VALU_DEP_1) | instskip(SKIP_1) | instid1(VALU_DEP_2)
	v_mul_f16_e32 v11, v9, v10
	v_mul_f16_e32 v10, v6, v10
	v_fmac_f16_e32 v11, v6, v8
	s_delay_alu instid0(VALU_DEP_2) | instskip(NEXT) | instid1(VALU_DEP_2)
	v_fma_f16 v6, v8, v9, -v10
	v_cvt_f32_f16_e32 v8, v11
	s_delay_alu instid0(VALU_DEP_2) | instskip(NEXT) | instid1(VALU_DEP_2)
	v_cvt_f32_f16_e32 v6, v6
	v_cvt_f64_f32_e32 v[8:9], v8
	s_delay_alu instid0(VALU_DEP_2) | instskip(NEXT) | instid1(VALU_DEP_2)
	v_cvt_f64_f32_e32 v[10:11], v6
	v_mul_f64_e32 v[8:9], s[8:9], v[8:9]
	s_delay_alu instid0(VALU_DEP_2) | instskip(NEXT) | instid1(VALU_DEP_2)
	v_mul_f64_e32 v[10:11], s[8:9], v[10:11]
	v_and_or_b32 v6, 0x1ff, v9, v8
	s_delay_alu instid0(VALU_DEP_2)
	v_and_or_b32 v10, 0x1ff, v11, v10
	v_lshrrev_b32_e32 v8, 8, v9
	v_bfe_u32 v12, v9, 20, 11
	v_lshrrev_b32_e32 v13, 8, v11
	v_cmp_ne_u32_e32 vcc_lo, 0, v6
	v_bfe_u32 v14, v11, 20, 11
	v_lshrrev_b32_e32 v9, 16, v9
	v_sub_nc_u32_e32 v15, 0x3f1, v12
	v_add_nc_u32_e32 v12, 0xfffffc10, v12
	s_wait_alu 0xfffd
	v_cndmask_b32_e64 v6, 0, 1, vcc_lo
	v_cmp_ne_u32_e32 vcc_lo, 0, v10
	v_lshrrev_b32_e32 v11, 16, v11
	s_delay_alu instid0(VALU_DEP_3) | instskip(SKIP_4) | instid1(VALU_DEP_3)
	v_and_or_b32 v6, 0xffe, v8, v6
	s_wait_alu 0xfffd
	v_cndmask_b32_e64 v10, 0, 1, vcc_lo
	v_sub_nc_u32_e32 v8, 0x3f1, v14
	v_add_nc_u32_e32 v14, 0xfffffc10, v14
	v_and_or_b32 v10, 0xffe, v13, v10
	v_med3_i32 v13, v15, 0, 13
	v_or_b32_e32 v15, 0x1000, v6
	v_med3_i32 v8, v8, 0, 13
	s_delay_alu instid0(VALU_DEP_4) | instskip(NEXT) | instid1(VALU_DEP_3)
	v_or_b32_e32 v16, 0x1000, v10
	v_lshrrev_b32_e32 v17, v13, v15
	s_delay_alu instid0(VALU_DEP_2) | instskip(NEXT) | instid1(VALU_DEP_2)
	v_lshrrev_b32_e32 v18, v8, v16
	v_lshlrev_b32_e32 v13, v13, v17
	s_delay_alu instid0(VALU_DEP_2) | instskip(NEXT) | instid1(VALU_DEP_2)
	v_lshlrev_b32_e32 v8, v8, v18
	v_cmp_ne_u32_e32 vcc_lo, v13, v15
	v_lshl_or_b32 v15, v12, 12, v6
	s_wait_alu 0xfffd
	v_cndmask_b32_e64 v13, 0, 1, vcc_lo
	v_cmp_ne_u32_e32 vcc_lo, v8, v16
	v_lshl_or_b32 v16, v14, 12, v10
	s_delay_alu instid0(VALU_DEP_3) | instskip(SKIP_3) | instid1(VALU_DEP_2)
	v_or_b32_e32 v13, v17, v13
	s_wait_alu 0xfffd
	v_cndmask_b32_e64 v8, 0, 1, vcc_lo
	v_cmp_gt_i32_e32 vcc_lo, 1, v12
	v_or_b32_e32 v8, v18, v8
	s_wait_alu 0xfffd
	v_cndmask_b32_e32 v13, v15, v13, vcc_lo
	v_cmp_gt_i32_e32 vcc_lo, 1, v14
	s_wait_alu 0xfffd
	s_delay_alu instid0(VALU_DEP_2) | instskip(SKIP_2) | instid1(VALU_DEP_3)
	v_dual_cndmask_b32 v8, v16, v8 :: v_dual_and_b32 v15, 7, v13
	v_cmp_ne_u32_e32 vcc_lo, 0, v6
	v_lshrrev_b32_e32 v13, 2, v13
	v_cmp_eq_u32_e64 s0, 3, v15
	s_delay_alu instid0(VALU_DEP_4)
	v_and_b32_e32 v16, 7, v8
	s_wait_alu 0xfffd
	v_cndmask_b32_e64 v6, 0, 1, vcc_lo
	v_cmp_ne_u32_e32 vcc_lo, 0, v10
	v_lshrrev_b32_e32 v8, 2, v8
	v_cmp_lt_i32_e64 s1, 5, v16
	v_cmp_eq_u32_e64 s2, 3, v16
	s_wait_alu 0xfffd
	v_cndmask_b32_e64 v10, 0, 1, vcc_lo
	v_cmp_lt_i32_e32 vcc_lo, 5, v15
	v_lshl_or_b32 v6, v6, 9, 0x7c00
	s_delay_alu instid0(VALU_DEP_3)
	v_lshl_or_b32 v10, v10, 9, 0x7c00
	s_or_b32 vcc_lo, s0, vcc_lo
	s_wait_alu 0xfffe
	v_add_co_ci_u32_e32 v13, vcc_lo, 0, v13, vcc_lo
	s_or_b32 vcc_lo, s2, s1
	s_wait_alu 0xfffe
	v_add_co_ci_u32_e32 v8, vcc_lo, 0, v8, vcc_lo
	v_cmp_gt_i32_e32 vcc_lo, 31, v12
	s_wait_alu 0xfffd
	v_cndmask_b32_e32 v13, 0x7c00, v13, vcc_lo
	v_cmp_gt_i32_e32 vcc_lo, 31, v14
	s_wait_alu 0xfffd
	v_cndmask_b32_e32 v8, 0x7c00, v8, vcc_lo
	v_cmp_eq_u32_e32 vcc_lo, 0x40f, v12
	s_wait_alu 0xfffd
	v_cndmask_b32_e32 v6, v13, v6, vcc_lo
	v_cmp_eq_u32_e32 vcc_lo, 0x40f, v14
	s_delay_alu instid0(VALU_DEP_2)
	v_and_or_b32 v6, 0x8000, v9, v6
	s_wait_alu 0xfffd
	v_cndmask_b32_e32 v8, v8, v10, vcc_lo
	v_add_co_u32 v4, vcc_lo, v4, s6
	s_wait_alu 0xfffd
	v_add_co_ci_u32_e32 v5, vcc_lo, s7, v5, vcc_lo
	s_delay_alu instid0(VALU_DEP_3) | instskip(SKIP_1) | instid1(VALU_DEP_1)
	v_and_or_b32 v8, 0x8000, v11, v8
	v_and_b32_e32 v6, 0xffff, v6
	v_lshl_or_b32 v6, v8, 16, v6
	v_lshrrev_b32_e32 v8, 16, v7
	global_store_b32 v[4:5], v6, off
	global_load_b32 v6, v42, s[12:13] offset:448
	s_wait_loadcnt 0x0
	v_lshrrev_b32_e32 v9, 16, v6
	s_delay_alu instid0(VALU_DEP_1) | instskip(SKIP_1) | instid1(VALU_DEP_2)
	v_mul_f16_e32 v10, v8, v9
	v_mul_f16_e32 v9, v7, v9
	v_fmac_f16_e32 v10, v7, v6
	s_delay_alu instid0(VALU_DEP_2) | instskip(NEXT) | instid1(VALU_DEP_2)
	v_fma_f16 v6, v6, v8, -v9
	v_cvt_f32_f16_e32 v7, v10
	s_delay_alu instid0(VALU_DEP_2) | instskip(NEXT) | instid1(VALU_DEP_2)
	v_cvt_f32_f16_e32 v8, v6
	v_cvt_f64_f32_e32 v[6:7], v7
	s_delay_alu instid0(VALU_DEP_2) | instskip(NEXT) | instid1(VALU_DEP_2)
	v_cvt_f64_f32_e32 v[8:9], v8
	v_mul_f64_e32 v[6:7], s[8:9], v[6:7]
	s_delay_alu instid0(VALU_DEP_2) | instskip(NEXT) | instid1(VALU_DEP_2)
	v_mul_f64_e32 v[8:9], s[8:9], v[8:9]
	v_and_or_b32 v6, 0x1ff, v7, v6
	s_delay_alu instid0(VALU_DEP_2)
	v_and_or_b32 v8, 0x1ff, v9, v8
	v_lshrrev_b32_e32 v10, 8, v7
	v_bfe_u32 v11, v7, 20, 11
	v_lshrrev_b32_e32 v12, 8, v9
	v_cmp_ne_u32_e32 vcc_lo, 0, v6
	v_bfe_u32 v13, v9, 20, 11
	v_lshrrev_b32_e32 v7, 16, v7
	v_sub_nc_u32_e32 v14, 0x3f1, v11
	v_add_nc_u32_e32 v11, 0xfffffc10, v11
	s_wait_alu 0xfffd
	v_cndmask_b32_e64 v6, 0, 1, vcc_lo
	v_cmp_ne_u32_e32 vcc_lo, 0, v8
	v_lshrrev_b32_e32 v9, 16, v9
	s_delay_alu instid0(VALU_DEP_3) | instskip(SKIP_4) | instid1(VALU_DEP_3)
	v_and_or_b32 v6, 0xffe, v10, v6
	s_wait_alu 0xfffd
	v_cndmask_b32_e64 v8, 0, 1, vcc_lo
	v_sub_nc_u32_e32 v10, 0x3f1, v13
	v_add_nc_u32_e32 v13, 0xfffffc10, v13
	v_and_or_b32 v8, 0xffe, v12, v8
	v_med3_i32 v12, v14, 0, 13
	v_or_b32_e32 v14, 0x1000, v6
	v_med3_i32 v10, v10, 0, 13
	s_delay_alu instid0(VALU_DEP_4) | instskip(NEXT) | instid1(VALU_DEP_3)
	v_or_b32_e32 v15, 0x1000, v8
	v_lshrrev_b32_e32 v16, v12, v14
	s_delay_alu instid0(VALU_DEP_2) | instskip(NEXT) | instid1(VALU_DEP_2)
	v_lshrrev_b32_e32 v17, v10, v15
	v_lshlrev_b32_e32 v12, v12, v16
	s_delay_alu instid0(VALU_DEP_2) | instskip(NEXT) | instid1(VALU_DEP_2)
	v_lshlrev_b32_e32 v10, v10, v17
	v_cmp_ne_u32_e32 vcc_lo, v12, v14
	v_lshl_or_b32 v14, v11, 12, v6
	s_wait_alu 0xfffd
	v_cndmask_b32_e64 v12, 0, 1, vcc_lo
	v_cmp_ne_u32_e32 vcc_lo, v10, v15
	v_lshl_or_b32 v15, v13, 12, v8
	s_delay_alu instid0(VALU_DEP_3) | instskip(SKIP_3) | instid1(VALU_DEP_2)
	v_or_b32_e32 v12, v16, v12
	s_wait_alu 0xfffd
	v_cndmask_b32_e64 v10, 0, 1, vcc_lo
	v_cmp_gt_i32_e32 vcc_lo, 1, v11
	v_or_b32_e32 v10, v17, v10
	s_wait_alu 0xfffd
	v_cndmask_b32_e32 v12, v14, v12, vcc_lo
	v_cmp_gt_i32_e32 vcc_lo, 1, v13
	s_delay_alu instid0(VALU_DEP_2)
	v_and_b32_e32 v14, 7, v12
	s_wait_alu 0xfffd
	v_cndmask_b32_e32 v10, v15, v10, vcc_lo
	v_cmp_ne_u32_e32 vcc_lo, 0, v6
	v_lshrrev_b32_e32 v12, 2, v12
	v_cmp_eq_u32_e64 s0, 3, v14
	s_delay_alu instid0(VALU_DEP_4)
	v_and_b32_e32 v15, 7, v10
	s_wait_alu 0xfffd
	v_cndmask_b32_e64 v6, 0, 1, vcc_lo
	v_cmp_ne_u32_e32 vcc_lo, 0, v8
	v_lshrrev_b32_e32 v10, 2, v10
	v_cmp_lt_i32_e64 s1, 5, v15
	v_cmp_eq_u32_e64 s2, 3, v15
	s_wait_alu 0xfffd
	v_cndmask_b32_e64 v8, 0, 1, vcc_lo
	v_cmp_lt_i32_e32 vcc_lo, 5, v14
	v_lshl_or_b32 v6, v6, 9, 0x7c00
	s_delay_alu instid0(VALU_DEP_3)
	v_lshl_or_b32 v8, v8, 9, 0x7c00
	s_or_b32 vcc_lo, s0, vcc_lo
	s_wait_alu 0xfffe
	v_add_co_ci_u32_e32 v12, vcc_lo, 0, v12, vcc_lo
	s_or_b32 vcc_lo, s2, s1
	s_wait_alu 0xfffe
	v_add_co_ci_u32_e32 v10, vcc_lo, 0, v10, vcc_lo
	v_cmp_gt_i32_e32 vcc_lo, 31, v11
	s_wait_alu 0xfffd
	v_cndmask_b32_e32 v12, 0x7c00, v12, vcc_lo
	v_cmp_gt_i32_e32 vcc_lo, 31, v13
	s_wait_alu 0xfffd
	v_cndmask_b32_e32 v10, 0x7c00, v10, vcc_lo
	v_cmp_eq_u32_e32 vcc_lo, 0x40f, v11
	s_wait_alu 0xfffd
	v_cndmask_b32_e32 v6, v12, v6, vcc_lo
	v_cmp_eq_u32_e32 vcc_lo, 0x40f, v13
	s_delay_alu instid0(VALU_DEP_2)
	v_and_or_b32 v6, 0x8000, v7, v6
	s_wait_alu 0xfffd
	v_cndmask_b32_e32 v8, v10, v8, vcc_lo
	v_add_co_u32 v4, vcc_lo, v4, s6
	s_wait_alu 0xfffd
	v_add_co_ci_u32_e32 v5, vcc_lo, s7, v5, vcc_lo
	s_delay_alu instid0(VALU_DEP_3) | instskip(SKIP_1) | instid1(VALU_DEP_1)
	v_and_or_b32 v7, 0x8000, v9, v8
	v_and_b32_e32 v6, 0xffff, v6
	v_lshl_or_b32 v6, v7, 16, v6
	global_store_b32 v[4:5], v6, off
	global_load_b32 v8, v42, s[12:13] offset:672
	ds_load_2addr_b32 v[6:7], v46 offset0:168 offset1:224
	s_wait_dscnt 0x0
	v_lshrrev_b32_e32 v9, 16, v6
	s_wait_loadcnt 0x0
	v_lshrrev_b32_e32 v10, 16, v8
	s_delay_alu instid0(VALU_DEP_1) | instskip(SKIP_1) | instid1(VALU_DEP_2)
	v_mul_f16_e32 v11, v9, v10
	v_mul_f16_e32 v10, v6, v10
	v_fmac_f16_e32 v11, v6, v8
	s_delay_alu instid0(VALU_DEP_2) | instskip(NEXT) | instid1(VALU_DEP_2)
	v_fma_f16 v6, v8, v9, -v10
	v_cvt_f32_f16_e32 v8, v11
	s_delay_alu instid0(VALU_DEP_2) | instskip(NEXT) | instid1(VALU_DEP_2)
	v_cvt_f32_f16_e32 v6, v6
	v_cvt_f64_f32_e32 v[8:9], v8
	s_delay_alu instid0(VALU_DEP_2) | instskip(NEXT) | instid1(VALU_DEP_2)
	v_cvt_f64_f32_e32 v[10:11], v6
	v_mul_f64_e32 v[8:9], s[8:9], v[8:9]
	s_delay_alu instid0(VALU_DEP_2) | instskip(NEXT) | instid1(VALU_DEP_2)
	v_mul_f64_e32 v[10:11], s[8:9], v[10:11]
	v_and_or_b32 v6, 0x1ff, v9, v8
	s_delay_alu instid0(VALU_DEP_2)
	v_and_or_b32 v10, 0x1ff, v11, v10
	v_lshrrev_b32_e32 v8, 8, v9
	v_bfe_u32 v12, v9, 20, 11
	v_lshrrev_b32_e32 v13, 8, v11
	v_cmp_ne_u32_e32 vcc_lo, 0, v6
	v_bfe_u32 v14, v11, 20, 11
	v_lshrrev_b32_e32 v9, 16, v9
	v_sub_nc_u32_e32 v15, 0x3f1, v12
	v_add_nc_u32_e32 v12, 0xfffffc10, v12
	s_wait_alu 0xfffd
	v_cndmask_b32_e64 v6, 0, 1, vcc_lo
	v_cmp_ne_u32_e32 vcc_lo, 0, v10
	v_lshrrev_b32_e32 v11, 16, v11
	s_delay_alu instid0(VALU_DEP_3) | instskip(SKIP_4) | instid1(VALU_DEP_3)
	v_and_or_b32 v6, 0xffe, v8, v6
	s_wait_alu 0xfffd
	v_cndmask_b32_e64 v10, 0, 1, vcc_lo
	v_sub_nc_u32_e32 v8, 0x3f1, v14
	v_add_nc_u32_e32 v14, 0xfffffc10, v14
	v_and_or_b32 v10, 0xffe, v13, v10
	v_med3_i32 v13, v15, 0, 13
	v_or_b32_e32 v15, 0x1000, v6
	v_med3_i32 v8, v8, 0, 13
	s_delay_alu instid0(VALU_DEP_4) | instskip(NEXT) | instid1(VALU_DEP_3)
	v_or_b32_e32 v16, 0x1000, v10
	v_lshrrev_b32_e32 v17, v13, v15
	s_delay_alu instid0(VALU_DEP_2) | instskip(NEXT) | instid1(VALU_DEP_2)
	v_lshrrev_b32_e32 v18, v8, v16
	v_lshlrev_b32_e32 v13, v13, v17
	s_delay_alu instid0(VALU_DEP_2) | instskip(NEXT) | instid1(VALU_DEP_2)
	v_lshlrev_b32_e32 v8, v8, v18
	v_cmp_ne_u32_e32 vcc_lo, v13, v15
	v_lshl_or_b32 v15, v12, 12, v6
	s_wait_alu 0xfffd
	v_cndmask_b32_e64 v13, 0, 1, vcc_lo
	v_cmp_ne_u32_e32 vcc_lo, v8, v16
	v_lshl_or_b32 v16, v14, 12, v10
	s_delay_alu instid0(VALU_DEP_3) | instskip(SKIP_3) | instid1(VALU_DEP_2)
	v_or_b32_e32 v13, v17, v13
	s_wait_alu 0xfffd
	v_cndmask_b32_e64 v8, 0, 1, vcc_lo
	v_cmp_gt_i32_e32 vcc_lo, 1, v12
	v_or_b32_e32 v8, v18, v8
	s_wait_alu 0xfffd
	v_cndmask_b32_e32 v13, v15, v13, vcc_lo
	v_cmp_gt_i32_e32 vcc_lo, 1, v14
	s_wait_alu 0xfffd
	s_delay_alu instid0(VALU_DEP_2) | instskip(SKIP_2) | instid1(VALU_DEP_3)
	v_dual_cndmask_b32 v8, v16, v8 :: v_dual_and_b32 v15, 7, v13
	v_cmp_ne_u32_e32 vcc_lo, 0, v6
	v_lshrrev_b32_e32 v13, 2, v13
	v_cmp_eq_u32_e64 s0, 3, v15
	s_delay_alu instid0(VALU_DEP_4)
	v_and_b32_e32 v16, 7, v8
	s_wait_alu 0xfffd
	v_cndmask_b32_e64 v6, 0, 1, vcc_lo
	v_cmp_ne_u32_e32 vcc_lo, 0, v10
	v_lshrrev_b32_e32 v8, 2, v8
	v_cmp_lt_i32_e64 s1, 5, v16
	v_cmp_eq_u32_e64 s2, 3, v16
	s_wait_alu 0xfffd
	v_cndmask_b32_e64 v10, 0, 1, vcc_lo
	v_cmp_lt_i32_e32 vcc_lo, 5, v15
	v_lshl_or_b32 v6, v6, 9, 0x7c00
	s_delay_alu instid0(VALU_DEP_3)
	v_lshl_or_b32 v10, v10, 9, 0x7c00
	s_or_b32 vcc_lo, s0, vcc_lo
	s_wait_alu 0xfffe
	v_add_co_ci_u32_e32 v13, vcc_lo, 0, v13, vcc_lo
	s_or_b32 vcc_lo, s2, s1
	s_wait_alu 0xfffe
	v_add_co_ci_u32_e32 v8, vcc_lo, 0, v8, vcc_lo
	v_cmp_gt_i32_e32 vcc_lo, 31, v12
	s_wait_alu 0xfffd
	v_cndmask_b32_e32 v13, 0x7c00, v13, vcc_lo
	v_cmp_gt_i32_e32 vcc_lo, 31, v14
	s_wait_alu 0xfffd
	v_cndmask_b32_e32 v8, 0x7c00, v8, vcc_lo
	v_cmp_eq_u32_e32 vcc_lo, 0x40f, v12
	s_wait_alu 0xfffd
	v_cndmask_b32_e32 v6, v13, v6, vcc_lo
	v_cmp_eq_u32_e32 vcc_lo, 0x40f, v14
	s_delay_alu instid0(VALU_DEP_2)
	v_and_or_b32 v6, 0x8000, v9, v6
	s_wait_alu 0xfffd
	v_cndmask_b32_e32 v8, v8, v10, vcc_lo
	v_add_co_u32 v4, vcc_lo, v4, s6
	s_wait_alu 0xfffd
	v_add_co_ci_u32_e32 v5, vcc_lo, s7, v5, vcc_lo
	s_delay_alu instid0(VALU_DEP_3) | instskip(SKIP_1) | instid1(VALU_DEP_1)
	v_and_or_b32 v8, 0x8000, v11, v8
	v_and_b32_e32 v6, 0xffff, v6
	v_lshl_or_b32 v6, v8, 16, v6
	v_lshrrev_b32_e32 v8, 16, v7
	global_store_b32 v[4:5], v6, off
	global_load_b32 v6, v42, s[12:13] offset:896
	s_wait_loadcnt 0x0
	v_lshrrev_b32_e32 v9, 16, v6
	s_delay_alu instid0(VALU_DEP_1) | instskip(SKIP_1) | instid1(VALU_DEP_2)
	v_mul_f16_e32 v10, v8, v9
	v_mul_f16_e32 v9, v7, v9
	v_fmac_f16_e32 v10, v7, v6
	s_delay_alu instid0(VALU_DEP_2) | instskip(NEXT) | instid1(VALU_DEP_2)
	v_fma_f16 v6, v6, v8, -v9
	v_cvt_f32_f16_e32 v7, v10
	s_delay_alu instid0(VALU_DEP_2) | instskip(NEXT) | instid1(VALU_DEP_2)
	v_cvt_f32_f16_e32 v8, v6
	v_cvt_f64_f32_e32 v[6:7], v7
	s_delay_alu instid0(VALU_DEP_2) | instskip(NEXT) | instid1(VALU_DEP_2)
	v_cvt_f64_f32_e32 v[8:9], v8
	v_mul_f64_e32 v[6:7], s[8:9], v[6:7]
	s_delay_alu instid0(VALU_DEP_2) | instskip(NEXT) | instid1(VALU_DEP_2)
	v_mul_f64_e32 v[8:9], s[8:9], v[8:9]
	v_and_or_b32 v6, 0x1ff, v7, v6
	s_delay_alu instid0(VALU_DEP_2)
	v_and_or_b32 v8, 0x1ff, v9, v8
	v_lshrrev_b32_e32 v10, 8, v7
	v_bfe_u32 v11, v7, 20, 11
	v_lshrrev_b32_e32 v12, 8, v9
	v_cmp_ne_u32_e32 vcc_lo, 0, v6
	v_bfe_u32 v13, v9, 20, 11
	v_lshrrev_b32_e32 v7, 16, v7
	v_sub_nc_u32_e32 v14, 0x3f1, v11
	v_add_nc_u32_e32 v11, 0xfffffc10, v11
	s_wait_alu 0xfffd
	v_cndmask_b32_e64 v6, 0, 1, vcc_lo
	v_cmp_ne_u32_e32 vcc_lo, 0, v8
	v_lshrrev_b32_e32 v9, 16, v9
	s_delay_alu instid0(VALU_DEP_3) | instskip(SKIP_4) | instid1(VALU_DEP_3)
	v_and_or_b32 v6, 0xffe, v10, v6
	s_wait_alu 0xfffd
	v_cndmask_b32_e64 v8, 0, 1, vcc_lo
	v_sub_nc_u32_e32 v10, 0x3f1, v13
	v_add_nc_u32_e32 v13, 0xfffffc10, v13
	v_and_or_b32 v8, 0xffe, v12, v8
	v_med3_i32 v12, v14, 0, 13
	v_or_b32_e32 v14, 0x1000, v6
	v_med3_i32 v10, v10, 0, 13
	s_delay_alu instid0(VALU_DEP_4) | instskip(NEXT) | instid1(VALU_DEP_3)
	v_or_b32_e32 v15, 0x1000, v8
	v_lshrrev_b32_e32 v16, v12, v14
	s_delay_alu instid0(VALU_DEP_2) | instskip(NEXT) | instid1(VALU_DEP_2)
	v_lshrrev_b32_e32 v17, v10, v15
	v_lshlrev_b32_e32 v12, v12, v16
	s_delay_alu instid0(VALU_DEP_2) | instskip(NEXT) | instid1(VALU_DEP_2)
	v_lshlrev_b32_e32 v10, v10, v17
	v_cmp_ne_u32_e32 vcc_lo, v12, v14
	v_lshl_or_b32 v14, v11, 12, v6
	s_wait_alu 0xfffd
	v_cndmask_b32_e64 v12, 0, 1, vcc_lo
	v_cmp_ne_u32_e32 vcc_lo, v10, v15
	v_lshl_or_b32 v15, v13, 12, v8
	s_delay_alu instid0(VALU_DEP_3) | instskip(SKIP_3) | instid1(VALU_DEP_2)
	v_or_b32_e32 v12, v16, v12
	s_wait_alu 0xfffd
	v_cndmask_b32_e64 v10, 0, 1, vcc_lo
	v_cmp_gt_i32_e32 vcc_lo, 1, v11
	v_or_b32_e32 v10, v17, v10
	s_wait_alu 0xfffd
	v_cndmask_b32_e32 v12, v14, v12, vcc_lo
	v_cmp_gt_i32_e32 vcc_lo, 1, v13
	s_delay_alu instid0(VALU_DEP_2)
	v_and_b32_e32 v14, 7, v12
	s_wait_alu 0xfffd
	v_cndmask_b32_e32 v10, v15, v10, vcc_lo
	v_cmp_ne_u32_e32 vcc_lo, 0, v6
	v_lshrrev_b32_e32 v12, 2, v12
	v_cmp_eq_u32_e64 s0, 3, v14
	s_delay_alu instid0(VALU_DEP_4)
	v_and_b32_e32 v15, 7, v10
	s_wait_alu 0xfffd
	v_cndmask_b32_e64 v6, 0, 1, vcc_lo
	v_cmp_ne_u32_e32 vcc_lo, 0, v8
	v_lshrrev_b32_e32 v10, 2, v10
	v_cmp_lt_i32_e64 s1, 5, v15
	v_cmp_eq_u32_e64 s2, 3, v15
	s_wait_alu 0xfffd
	v_cndmask_b32_e64 v8, 0, 1, vcc_lo
	v_cmp_lt_i32_e32 vcc_lo, 5, v14
	v_lshl_or_b32 v6, v6, 9, 0x7c00
	s_delay_alu instid0(VALU_DEP_3)
	v_lshl_or_b32 v8, v8, 9, 0x7c00
	s_or_b32 vcc_lo, s0, vcc_lo
	s_wait_alu 0xfffe
	v_add_co_ci_u32_e32 v12, vcc_lo, 0, v12, vcc_lo
	s_or_b32 vcc_lo, s2, s1
	s_wait_alu 0xfffe
	v_add_co_ci_u32_e32 v10, vcc_lo, 0, v10, vcc_lo
	v_cmp_gt_i32_e32 vcc_lo, 31, v11
	s_wait_alu 0xfffd
	v_cndmask_b32_e32 v12, 0x7c00, v12, vcc_lo
	v_cmp_gt_i32_e32 vcc_lo, 31, v13
	s_wait_alu 0xfffd
	v_cndmask_b32_e32 v10, 0x7c00, v10, vcc_lo
	v_cmp_eq_u32_e32 vcc_lo, 0x40f, v11
	s_wait_alu 0xfffd
	v_cndmask_b32_e32 v6, v12, v6, vcc_lo
	v_cmp_eq_u32_e32 vcc_lo, 0x40f, v13
	s_delay_alu instid0(VALU_DEP_2)
	v_and_or_b32 v6, 0x8000, v7, v6
	s_wait_alu 0xfffd
	v_cndmask_b32_e32 v8, v10, v8, vcc_lo
	v_add_co_u32 v4, vcc_lo, v4, s6
	s_wait_alu 0xfffd
	v_add_co_ci_u32_e32 v5, vcc_lo, s7, v5, vcc_lo
	s_delay_alu instid0(VALU_DEP_3) | instskip(SKIP_1) | instid1(VALU_DEP_1)
	v_and_or_b32 v7, 0x8000, v9, v8
	v_and_b32_e32 v6, 0xffff, v6
	v_lshl_or_b32 v6, v7, 16, v6
	global_store_b32 v[4:5], v6, off
	global_load_b32 v8, v42, s[12:13] offset:1120
	ds_load_2addr_b32 v[6:7], v3 offset0:24 offset1:80
	s_wait_dscnt 0x0
	v_lshrrev_b32_e32 v9, 16, v6
	s_wait_loadcnt 0x0
	v_lshrrev_b32_e32 v10, 16, v8
	s_delay_alu instid0(VALU_DEP_1) | instskip(SKIP_1) | instid1(VALU_DEP_2)
	v_mul_f16_e32 v11, v9, v10
	v_mul_f16_e32 v10, v6, v10
	v_fmac_f16_e32 v11, v6, v8
	s_delay_alu instid0(VALU_DEP_2) | instskip(NEXT) | instid1(VALU_DEP_2)
	v_fma_f16 v6, v8, v9, -v10
	v_cvt_f32_f16_e32 v8, v11
	s_delay_alu instid0(VALU_DEP_2) | instskip(NEXT) | instid1(VALU_DEP_2)
	v_cvt_f32_f16_e32 v6, v6
	v_cvt_f64_f32_e32 v[8:9], v8
	s_delay_alu instid0(VALU_DEP_2) | instskip(NEXT) | instid1(VALU_DEP_2)
	v_cvt_f64_f32_e32 v[10:11], v6
	v_mul_f64_e32 v[8:9], s[8:9], v[8:9]
	s_delay_alu instid0(VALU_DEP_2) | instskip(NEXT) | instid1(VALU_DEP_2)
	v_mul_f64_e32 v[10:11], s[8:9], v[10:11]
	v_and_or_b32 v6, 0x1ff, v9, v8
	s_delay_alu instid0(VALU_DEP_2)
	v_and_or_b32 v10, 0x1ff, v11, v10
	v_lshrrev_b32_e32 v8, 8, v9
	v_bfe_u32 v12, v9, 20, 11
	v_lshrrev_b32_e32 v13, 8, v11
	v_cmp_ne_u32_e32 vcc_lo, 0, v6
	v_bfe_u32 v14, v11, 20, 11
	v_lshrrev_b32_e32 v9, 16, v9
	v_sub_nc_u32_e32 v15, 0x3f1, v12
	v_add_nc_u32_e32 v12, 0xfffffc10, v12
	s_wait_alu 0xfffd
	v_cndmask_b32_e64 v6, 0, 1, vcc_lo
	v_cmp_ne_u32_e32 vcc_lo, 0, v10
	v_lshrrev_b32_e32 v11, 16, v11
	s_delay_alu instid0(VALU_DEP_3) | instskip(SKIP_4) | instid1(VALU_DEP_3)
	v_and_or_b32 v6, 0xffe, v8, v6
	s_wait_alu 0xfffd
	v_cndmask_b32_e64 v10, 0, 1, vcc_lo
	v_sub_nc_u32_e32 v8, 0x3f1, v14
	v_add_nc_u32_e32 v14, 0xfffffc10, v14
	v_and_or_b32 v10, 0xffe, v13, v10
	v_med3_i32 v13, v15, 0, 13
	v_or_b32_e32 v15, 0x1000, v6
	v_med3_i32 v8, v8, 0, 13
	s_delay_alu instid0(VALU_DEP_4) | instskip(NEXT) | instid1(VALU_DEP_3)
	v_or_b32_e32 v16, 0x1000, v10
	v_lshrrev_b32_e32 v17, v13, v15
	s_delay_alu instid0(VALU_DEP_2) | instskip(NEXT) | instid1(VALU_DEP_2)
	v_lshrrev_b32_e32 v18, v8, v16
	v_lshlrev_b32_e32 v13, v13, v17
	s_delay_alu instid0(VALU_DEP_2) | instskip(NEXT) | instid1(VALU_DEP_2)
	v_lshlrev_b32_e32 v8, v8, v18
	v_cmp_ne_u32_e32 vcc_lo, v13, v15
	v_lshl_or_b32 v15, v12, 12, v6
	s_wait_alu 0xfffd
	v_cndmask_b32_e64 v13, 0, 1, vcc_lo
	v_cmp_ne_u32_e32 vcc_lo, v8, v16
	v_lshl_or_b32 v16, v14, 12, v10
	s_delay_alu instid0(VALU_DEP_3) | instskip(SKIP_3) | instid1(VALU_DEP_2)
	v_or_b32_e32 v13, v17, v13
	s_wait_alu 0xfffd
	v_cndmask_b32_e64 v8, 0, 1, vcc_lo
	v_cmp_gt_i32_e32 vcc_lo, 1, v12
	v_or_b32_e32 v8, v18, v8
	s_wait_alu 0xfffd
	v_cndmask_b32_e32 v13, v15, v13, vcc_lo
	v_cmp_gt_i32_e32 vcc_lo, 1, v14
	s_wait_alu 0xfffd
	s_delay_alu instid0(VALU_DEP_2) | instskip(SKIP_2) | instid1(VALU_DEP_3)
	v_dual_cndmask_b32 v8, v16, v8 :: v_dual_and_b32 v15, 7, v13
	v_cmp_ne_u32_e32 vcc_lo, 0, v6
	v_lshrrev_b32_e32 v13, 2, v13
	v_cmp_eq_u32_e64 s0, 3, v15
	s_delay_alu instid0(VALU_DEP_4)
	v_and_b32_e32 v16, 7, v8
	s_wait_alu 0xfffd
	v_cndmask_b32_e64 v6, 0, 1, vcc_lo
	v_cmp_ne_u32_e32 vcc_lo, 0, v10
	v_lshrrev_b32_e32 v8, 2, v8
	v_cmp_lt_i32_e64 s1, 5, v16
	v_cmp_eq_u32_e64 s2, 3, v16
	s_wait_alu 0xfffd
	v_cndmask_b32_e64 v10, 0, 1, vcc_lo
	v_cmp_lt_i32_e32 vcc_lo, 5, v15
	v_lshl_or_b32 v6, v6, 9, 0x7c00
	s_delay_alu instid0(VALU_DEP_3)
	v_lshl_or_b32 v10, v10, 9, 0x7c00
	s_or_b32 vcc_lo, s0, vcc_lo
	s_wait_alu 0xfffe
	v_add_co_ci_u32_e32 v13, vcc_lo, 0, v13, vcc_lo
	s_or_b32 vcc_lo, s2, s1
	s_wait_alu 0xfffe
	v_add_co_ci_u32_e32 v8, vcc_lo, 0, v8, vcc_lo
	v_cmp_gt_i32_e32 vcc_lo, 31, v12
	s_wait_alu 0xfffd
	v_cndmask_b32_e32 v13, 0x7c00, v13, vcc_lo
	v_cmp_gt_i32_e32 vcc_lo, 31, v14
	s_wait_alu 0xfffd
	v_cndmask_b32_e32 v8, 0x7c00, v8, vcc_lo
	v_cmp_eq_u32_e32 vcc_lo, 0x40f, v12
	s_wait_alu 0xfffd
	v_cndmask_b32_e32 v6, v13, v6, vcc_lo
	v_cmp_eq_u32_e32 vcc_lo, 0x40f, v14
	s_delay_alu instid0(VALU_DEP_2)
	v_and_or_b32 v6, 0x8000, v9, v6
	s_wait_alu 0xfffd
	v_cndmask_b32_e32 v8, v8, v10, vcc_lo
	v_add_co_u32 v4, vcc_lo, v4, s6
	s_wait_alu 0xfffd
	v_add_co_ci_u32_e32 v5, vcc_lo, s7, v5, vcc_lo
	s_delay_alu instid0(VALU_DEP_3) | instskip(SKIP_1) | instid1(VALU_DEP_1)
	v_and_or_b32 v8, 0x8000, v11, v8
	v_and_b32_e32 v6, 0xffff, v6
	v_lshl_or_b32 v6, v8, 16, v6
	v_lshrrev_b32_e32 v8, 16, v7
	global_store_b32 v[4:5], v6, off
	global_load_b32 v6, v42, s[12:13] offset:1344
	s_wait_loadcnt 0x0
	v_lshrrev_b32_e32 v9, 16, v6
	s_delay_alu instid0(VALU_DEP_1) | instskip(SKIP_1) | instid1(VALU_DEP_2)
	v_mul_f16_e32 v10, v8, v9
	v_mul_f16_e32 v9, v7, v9
	v_fmac_f16_e32 v10, v7, v6
	s_delay_alu instid0(VALU_DEP_2) | instskip(NEXT) | instid1(VALU_DEP_2)
	v_fma_f16 v6, v6, v8, -v9
	v_cvt_f32_f16_e32 v7, v10
	s_delay_alu instid0(VALU_DEP_2) | instskip(NEXT) | instid1(VALU_DEP_2)
	v_cvt_f32_f16_e32 v8, v6
	v_cvt_f64_f32_e32 v[6:7], v7
	s_delay_alu instid0(VALU_DEP_2) | instskip(NEXT) | instid1(VALU_DEP_2)
	v_cvt_f64_f32_e32 v[8:9], v8
	v_mul_f64_e32 v[6:7], s[8:9], v[6:7]
	s_delay_alu instid0(VALU_DEP_2) | instskip(NEXT) | instid1(VALU_DEP_2)
	v_mul_f64_e32 v[8:9], s[8:9], v[8:9]
	v_and_or_b32 v6, 0x1ff, v7, v6
	s_delay_alu instid0(VALU_DEP_2)
	v_and_or_b32 v8, 0x1ff, v9, v8
	v_lshrrev_b32_e32 v10, 8, v7
	v_bfe_u32 v11, v7, 20, 11
	v_lshrrev_b32_e32 v12, 8, v9
	v_cmp_ne_u32_e32 vcc_lo, 0, v6
	v_bfe_u32 v13, v9, 20, 11
	v_lshrrev_b32_e32 v7, 16, v7
	v_sub_nc_u32_e32 v14, 0x3f1, v11
	v_add_nc_u32_e32 v11, 0xfffffc10, v11
	s_wait_alu 0xfffd
	v_cndmask_b32_e64 v6, 0, 1, vcc_lo
	v_cmp_ne_u32_e32 vcc_lo, 0, v8
	v_lshrrev_b32_e32 v9, 16, v9
	s_delay_alu instid0(VALU_DEP_3) | instskip(SKIP_4) | instid1(VALU_DEP_3)
	v_and_or_b32 v6, 0xffe, v10, v6
	s_wait_alu 0xfffd
	v_cndmask_b32_e64 v8, 0, 1, vcc_lo
	v_sub_nc_u32_e32 v10, 0x3f1, v13
	v_add_nc_u32_e32 v13, 0xfffffc10, v13
	v_and_or_b32 v8, 0xffe, v12, v8
	v_med3_i32 v12, v14, 0, 13
	v_or_b32_e32 v14, 0x1000, v6
	v_med3_i32 v10, v10, 0, 13
	s_delay_alu instid0(VALU_DEP_4) | instskip(NEXT) | instid1(VALU_DEP_3)
	v_or_b32_e32 v15, 0x1000, v8
	v_lshrrev_b32_e32 v16, v12, v14
	s_delay_alu instid0(VALU_DEP_2) | instskip(NEXT) | instid1(VALU_DEP_2)
	v_lshrrev_b32_e32 v17, v10, v15
	v_lshlrev_b32_e32 v12, v12, v16
	s_delay_alu instid0(VALU_DEP_2) | instskip(NEXT) | instid1(VALU_DEP_2)
	v_lshlrev_b32_e32 v10, v10, v17
	v_cmp_ne_u32_e32 vcc_lo, v12, v14
	v_lshl_or_b32 v14, v11, 12, v6
	s_wait_alu 0xfffd
	v_cndmask_b32_e64 v12, 0, 1, vcc_lo
	v_cmp_ne_u32_e32 vcc_lo, v10, v15
	v_lshl_or_b32 v15, v13, 12, v8
	s_delay_alu instid0(VALU_DEP_3) | instskip(SKIP_3) | instid1(VALU_DEP_2)
	v_or_b32_e32 v12, v16, v12
	s_wait_alu 0xfffd
	v_cndmask_b32_e64 v10, 0, 1, vcc_lo
	v_cmp_gt_i32_e32 vcc_lo, 1, v11
	v_or_b32_e32 v10, v17, v10
	s_wait_alu 0xfffd
	v_cndmask_b32_e32 v12, v14, v12, vcc_lo
	v_cmp_gt_i32_e32 vcc_lo, 1, v13
	s_delay_alu instid0(VALU_DEP_2)
	v_and_b32_e32 v14, 7, v12
	s_wait_alu 0xfffd
	v_cndmask_b32_e32 v10, v15, v10, vcc_lo
	v_cmp_ne_u32_e32 vcc_lo, 0, v6
	v_lshrrev_b32_e32 v12, 2, v12
	v_cmp_eq_u32_e64 s0, 3, v14
	s_delay_alu instid0(VALU_DEP_4)
	v_and_b32_e32 v15, 7, v10
	s_wait_alu 0xfffd
	v_cndmask_b32_e64 v6, 0, 1, vcc_lo
	v_cmp_ne_u32_e32 vcc_lo, 0, v8
	v_lshrrev_b32_e32 v10, 2, v10
	v_cmp_lt_i32_e64 s1, 5, v15
	v_cmp_eq_u32_e64 s2, 3, v15
	s_wait_alu 0xfffd
	v_cndmask_b32_e64 v8, 0, 1, vcc_lo
	v_cmp_lt_i32_e32 vcc_lo, 5, v14
	v_lshl_or_b32 v6, v6, 9, 0x7c00
	s_delay_alu instid0(VALU_DEP_3)
	v_lshl_or_b32 v8, v8, 9, 0x7c00
	s_or_b32 vcc_lo, s0, vcc_lo
	s_wait_alu 0xfffe
	v_add_co_ci_u32_e32 v12, vcc_lo, 0, v12, vcc_lo
	s_or_b32 vcc_lo, s2, s1
	s_wait_alu 0xfffe
	v_add_co_ci_u32_e32 v10, vcc_lo, 0, v10, vcc_lo
	v_cmp_gt_i32_e32 vcc_lo, 31, v11
	s_wait_alu 0xfffd
	v_cndmask_b32_e32 v12, 0x7c00, v12, vcc_lo
	v_cmp_gt_i32_e32 vcc_lo, 31, v13
	s_wait_alu 0xfffd
	v_cndmask_b32_e32 v10, 0x7c00, v10, vcc_lo
	v_cmp_eq_u32_e32 vcc_lo, 0x40f, v11
	s_wait_alu 0xfffd
	v_cndmask_b32_e32 v6, v12, v6, vcc_lo
	v_cmp_eq_u32_e32 vcc_lo, 0x40f, v13
	s_delay_alu instid0(VALU_DEP_2)
	v_and_or_b32 v6, 0x8000, v7, v6
	s_wait_alu 0xfffd
	v_cndmask_b32_e32 v8, v10, v8, vcc_lo
	v_add_co_u32 v4, vcc_lo, v4, s6
	s_wait_alu 0xfffd
	v_add_co_ci_u32_e32 v5, vcc_lo, s7, v5, vcc_lo
	s_delay_alu instid0(VALU_DEP_3) | instskip(SKIP_1) | instid1(VALU_DEP_1)
	v_and_or_b32 v7, 0x8000, v9, v8
	v_and_b32_e32 v6, 0xffff, v6
	v_lshl_or_b32 v6, v7, 16, v6
	global_store_b32 v[4:5], v6, off
	global_load_b32 v8, v42, s[12:13] offset:1568
	ds_load_2addr_b32 v[6:7], v3 offset0:136 offset1:192
	s_wait_dscnt 0x0
	v_lshrrev_b32_e32 v3, 16, v6
	s_wait_loadcnt 0x0
	v_lshrrev_b32_e32 v9, 16, v8
	s_delay_alu instid0(VALU_DEP_1) | instskip(SKIP_1) | instid1(VALU_DEP_2)
	v_mul_f16_e32 v10, v3, v9
	v_mul_f16_e32 v9, v6, v9
	v_fmac_f16_e32 v10, v6, v8
	s_delay_alu instid0(VALU_DEP_2) | instskip(NEXT) | instid1(VALU_DEP_2)
	v_fma_f16 v3, v8, v3, -v9
	v_cvt_f32_f16_e32 v6, v10
	s_delay_alu instid0(VALU_DEP_2) | instskip(NEXT) | instid1(VALU_DEP_2)
	v_cvt_f32_f16_e32 v3, v3
	v_cvt_f64_f32_e32 v[8:9], v6
	s_delay_alu instid0(VALU_DEP_2) | instskip(NEXT) | instid1(VALU_DEP_2)
	v_cvt_f64_f32_e32 v[10:11], v3
	v_mul_f64_e32 v[8:9], s[8:9], v[8:9]
	s_delay_alu instid0(VALU_DEP_2) | instskip(NEXT) | instid1(VALU_DEP_2)
	v_mul_f64_e32 v[10:11], s[8:9], v[10:11]
	v_and_or_b32 v3, 0x1ff, v9, v8
	s_delay_alu instid0(VALU_DEP_2)
	v_and_or_b32 v10, 0x1ff, v11, v10
	v_lshrrev_b32_e32 v6, 8, v9
	v_bfe_u32 v8, v9, 20, 11
	v_lshrrev_b32_e32 v12, 8, v11
	v_cmp_ne_u32_e32 vcc_lo, 0, v3
	v_bfe_u32 v13, v11, 20, 11
	v_lshrrev_b32_e32 v9, 16, v9
	v_sub_nc_u32_e32 v14, 0x3f1, v8
	v_add_nc_u32_e32 v8, 0xfffffc10, v8
	s_wait_alu 0xfffd
	v_cndmask_b32_e64 v3, 0, 1, vcc_lo
	v_cmp_ne_u32_e32 vcc_lo, 0, v10
	s_delay_alu instid0(VALU_DEP_2) | instskip(SKIP_4) | instid1(VALU_DEP_3)
	v_and_or_b32 v3, 0xffe, v6, v3
	s_wait_alu 0xfffd
	v_cndmask_b32_e64 v10, 0, 1, vcc_lo
	v_sub_nc_u32_e32 v6, 0x3f1, v13
	v_add_nc_u32_e32 v13, 0xfffffc10, v13
	v_and_or_b32 v10, 0xffe, v12, v10
	v_med3_i32 v12, v14, 0, 13
	v_or_b32_e32 v14, 0x1000, v3
	v_med3_i32 v6, v6, 0, 13
	s_delay_alu instid0(VALU_DEP_4) | instskip(NEXT) | instid1(VALU_DEP_3)
	v_or_b32_e32 v15, 0x1000, v10
	v_lshrrev_b32_e32 v16, v12, v14
	s_delay_alu instid0(VALU_DEP_2) | instskip(NEXT) | instid1(VALU_DEP_2)
	v_lshrrev_b32_e32 v17, v6, v15
	v_lshlrev_b32_e32 v12, v12, v16
	s_delay_alu instid0(VALU_DEP_2) | instskip(NEXT) | instid1(VALU_DEP_2)
	v_lshlrev_b32_e32 v6, v6, v17
	v_cmp_ne_u32_e32 vcc_lo, v12, v14
	v_lshl_or_b32 v14, v8, 12, v3
	s_wait_alu 0xfffd
	v_cndmask_b32_e64 v12, 0, 1, vcc_lo
	v_cmp_ne_u32_e32 vcc_lo, v6, v15
	v_lshl_or_b32 v15, v13, 12, v10
	s_delay_alu instid0(VALU_DEP_3) | instskip(SKIP_3) | instid1(VALU_DEP_2)
	v_or_b32_e32 v12, v16, v12
	s_wait_alu 0xfffd
	v_cndmask_b32_e64 v6, 0, 1, vcc_lo
	v_cmp_gt_i32_e32 vcc_lo, 1, v8
	v_or_b32_e32 v6, v17, v6
	s_wait_alu 0xfffd
	v_cndmask_b32_e32 v12, v14, v12, vcc_lo
	v_cmp_gt_i32_e32 vcc_lo, 1, v13
	s_delay_alu instid0(VALU_DEP_2)
	v_and_b32_e32 v14, 7, v12
	s_wait_alu 0xfffd
	v_cndmask_b32_e32 v6, v15, v6, vcc_lo
	v_cmp_ne_u32_e32 vcc_lo, 0, v3
	v_lshrrev_b32_e32 v12, 2, v12
	v_cmp_eq_u32_e64 s0, 3, v14
	s_delay_alu instid0(VALU_DEP_4)
	v_and_b32_e32 v15, 7, v6
	s_wait_alu 0xfffd
	v_cndmask_b32_e64 v3, 0, 1, vcc_lo
	v_cmp_ne_u32_e32 vcc_lo, 0, v10
	v_lshrrev_b32_e32 v6, 2, v6
	v_cmp_lt_i32_e64 s1, 5, v15
	v_cmp_eq_u32_e64 s2, 3, v15
	s_wait_alu 0xfffd
	v_cndmask_b32_e64 v10, 0, 1, vcc_lo
	v_cmp_lt_i32_e32 vcc_lo, 5, v14
	v_lshl_or_b32 v3, v3, 9, 0x7c00
	s_delay_alu instid0(VALU_DEP_3)
	v_lshl_or_b32 v10, v10, 9, 0x7c00
	s_or_b32 vcc_lo, s0, vcc_lo
	s_wait_alu 0xfffe
	v_add_co_ci_u32_e32 v12, vcc_lo, 0, v12, vcc_lo
	s_or_b32 vcc_lo, s2, s1
	s_wait_alu 0xfffe
	v_add_co_ci_u32_e32 v6, vcc_lo, 0, v6, vcc_lo
	v_cmp_gt_i32_e32 vcc_lo, 31, v8
	s_wait_alu 0xfffd
	v_cndmask_b32_e32 v12, 0x7c00, v12, vcc_lo
	v_cmp_gt_i32_e32 vcc_lo, 31, v13
	s_wait_alu 0xfffd
	v_cndmask_b32_e32 v6, 0x7c00, v6, vcc_lo
	v_cmp_eq_u32_e32 vcc_lo, 0x40f, v8
	v_lshrrev_b32_e32 v8, 16, v11
	s_wait_alu 0xfffd
	v_cndmask_b32_e32 v3, v12, v3, vcc_lo
	v_cmp_eq_u32_e32 vcc_lo, 0x40f, v13
	s_delay_alu instid0(VALU_DEP_2) | instskip(SKIP_2) | instid1(VALU_DEP_1)
	v_and_or_b32 v3, 0x8000, v9, v3
	s_wait_alu 0xfffd
	v_cndmask_b32_e32 v6, v6, v10, vcc_lo
	v_and_or_b32 v6, 0x8000, v8, v6
	s_delay_alu instid0(VALU_DEP_3) | instskip(SKIP_3) | instid1(VALU_DEP_3)
	v_and_b32_e32 v8, 0xffff, v3
	v_add_co_u32 v3, vcc_lo, v4, s6
	s_wait_alu 0xfffd
	v_add_co_ci_u32_e32 v4, vcc_lo, s7, v5, vcc_lo
	v_lshl_or_b32 v5, v6, 16, v8
	v_lshrrev_b32_e32 v6, 16, v7
	global_store_b32 v[3:4], v5, off
	global_load_b32 v5, v42, s[12:13] offset:1792
	v_mad_co_u64_u32 v[3:4], null, 0x1c0, s4, v[3:4]
	s_wait_loadcnt 0x0
	v_lshrrev_b32_e32 v8, 16, v5
	s_delay_alu instid0(VALU_DEP_1) | instskip(SKIP_1) | instid1(VALU_DEP_2)
	v_mul_f16_e32 v9, v6, v8
	v_mul_f16_e32 v8, v7, v8
	v_fmac_f16_e32 v9, v7, v5
	s_delay_alu instid0(VALU_DEP_2) | instskip(NEXT) | instid1(VALU_DEP_2)
	v_fma_f16 v5, v5, v6, -v8
	v_cvt_f32_f16_e32 v6, v9
	s_delay_alu instid0(VALU_DEP_2) | instskip(NEXT) | instid1(VALU_DEP_2)
	v_cvt_f32_f16_e32 v7, v5
	v_cvt_f64_f32_e32 v[5:6], v6
	s_delay_alu instid0(VALU_DEP_2) | instskip(NEXT) | instid1(VALU_DEP_2)
	v_cvt_f64_f32_e32 v[7:8], v7
	v_mul_f64_e32 v[5:6], s[8:9], v[5:6]
	s_delay_alu instid0(VALU_DEP_2) | instskip(NEXT) | instid1(VALU_DEP_2)
	v_mul_f64_e32 v[7:8], s[8:9], v[7:8]
	v_and_or_b32 v5, 0x1ff, v6, v5
	s_delay_alu instid0(VALU_DEP_2)
	v_and_or_b32 v7, 0x1ff, v8, v7
	v_lshrrev_b32_e32 v9, 8, v6
	v_bfe_u32 v11, v6, 20, 11
	v_bfe_u32 v12, v8, 20, 11
	v_cmp_ne_u32_e32 vcc_lo, 0, v5
	v_lshrrev_b32_e32 v10, 8, v8
	v_lshrrev_b32_e32 v8, 16, v8
	v_sub_nc_u32_e32 v13, 0x3f1, v11
	v_sub_nc_u32_e32 v14, 0x3f1, v12
	s_wait_alu 0xfffd
	v_cndmask_b32_e64 v5, 0, 1, vcc_lo
	v_cmp_ne_u32_e32 vcc_lo, 0, v7
	v_add_nc_u32_e32 v12, 0xfffffc10, v12
	s_delay_alu instid0(VALU_DEP_3)
	v_and_or_b32 v15, 0xffe, v9, v5
	s_wait_alu 0xfffd
	v_cndmask_b32_e64 v7, 0, 1, vcc_lo
	v_med3_i32 v5, v13, 0, 13
	v_med3_i32 v13, v14, 0, 13
	v_or_b32_e32 v14, 0x1000, v15
	s_delay_alu instid0(VALU_DEP_4) | instskip(SKIP_1) | instid1(VALU_DEP_3)
	v_and_or_b32 v7, 0xffe, v10, v7
	v_mad_co_u64_u32 v[9:10], null, s4, v43, 0
	v_lshrrev_b32_e32 v17, v5, v14
	s_delay_alu instid0(VALU_DEP_3) | instskip(NEXT) | instid1(VALU_DEP_2)
	v_or_b32_e32 v16, 0x1000, v7
	v_lshlrev_b32_e32 v19, v5, v17
	s_delay_alu instid0(VALU_DEP_2) | instskip(SKIP_1) | instid1(VALU_DEP_3)
	v_lshrrev_b32_e32 v18, v13, v16
	v_mov_b32_e32 v5, v10
	v_cmp_ne_u32_e32 vcc_lo, v19, v14
	s_delay_alu instid0(VALU_DEP_3) | instskip(SKIP_3) | instid1(VALU_DEP_3)
	v_lshlrev_b32_e32 v10, v13, v18
	v_add_nc_u32_e32 v13, 0xfffffc10, v11
	s_wait_alu 0xfffd
	v_cndmask_b32_e64 v14, 0, 1, vcc_lo
	v_cmp_ne_u32_e32 vcc_lo, v10, v16
	v_mad_co_u64_u32 v[10:11], null, s5, v43, v[5:6]
	v_lshl_or_b32 v5, v13, 12, v15
	s_delay_alu instid0(VALU_DEP_4)
	v_or_b32_e32 v11, v17, v14
	s_wait_alu 0xfffd
	v_cndmask_b32_e64 v16, 0, 1, vcc_lo
	v_cmp_gt_i32_e32 vcc_lo, 1, v13
	v_lshl_or_b32 v14, v12, 12, v7
	v_lshrrev_b32_e32 v6, 16, v6
	s_delay_alu instid0(VALU_DEP_4)
	v_or_b32_e32 v16, v18, v16
	s_wait_alu 0xfffd
	v_cndmask_b32_e32 v5, v5, v11, vcc_lo
	v_cmp_gt_i32_e32 vcc_lo, 1, v12
	s_wait_alu 0xfffd
	v_cndmask_b32_e32 v11, v14, v16, vcc_lo
	v_cmp_ne_u32_e32 vcc_lo, 0, v15
	v_and_b32_e32 v15, 7, v5
	v_lshrrev_b32_e32 v5, 2, v5
	s_delay_alu instid0(VALU_DEP_4)
	v_and_b32_e32 v16, 7, v11
	s_wait_alu 0xfffd
	v_cndmask_b32_e64 v14, 0, 1, vcc_lo
	v_cmp_ne_u32_e32 vcc_lo, 0, v7
	v_cmp_eq_u32_e64 s0, 3, v15
	v_lshrrev_b32_e32 v11, 2, v11
	v_cmp_lt_i32_e64 s1, 5, v16
	v_cmp_eq_u32_e64 s2, 3, v16
	s_wait_alu 0xfffd
	v_cndmask_b32_e64 v7, 0, 1, vcc_lo
	v_cmp_lt_i32_e32 vcc_lo, 5, v15
	v_lshl_or_b32 v14, v14, 9, 0x7c00
	s_delay_alu instid0(VALU_DEP_3)
	v_lshl_or_b32 v7, v7, 9, 0x7c00
	s_or_b32 vcc_lo, s0, vcc_lo
	s_wait_alu 0xfffe
	v_add_co_ci_u32_e32 v5, vcc_lo, 0, v5, vcc_lo
	s_or_b32 vcc_lo, s2, s1
	s_wait_alu 0xfffe
	v_add_co_ci_u32_e32 v11, vcc_lo, 0, v11, vcc_lo
	v_cmp_gt_i32_e32 vcc_lo, 31, v13
	s_wait_alu 0xfffd
	v_cndmask_b32_e32 v5, 0x7c00, v5, vcc_lo
	v_cmp_gt_i32_e32 vcc_lo, 31, v12
	s_wait_alu 0xfffd
	v_cndmask_b32_e32 v11, 0x7c00, v11, vcc_lo
	v_cmp_eq_u32_e32 vcc_lo, 0x40f, v13
	s_wait_alu 0xfffd
	v_cndmask_b32_e32 v5, v5, v14, vcc_lo
	v_cmp_eq_u32_e32 vcc_lo, 0x40f, v12
	s_wait_alu 0xfffd
	v_cndmask_b32_e32 v7, v11, v7, vcc_lo
	s_delay_alu instid0(VALU_DEP_3) | instskip(SKIP_1) | instid1(VALU_DEP_3)
	v_and_or_b32 v11, 0x8000, v6, v5
	v_lshlrev_b64_e32 v[5:6], 2, v[9:10]
	v_and_or_b32 v7, 0x8000, v8, v7
	s_delay_alu instid0(VALU_DEP_3) | instskip(NEXT) | instid1(VALU_DEP_3)
	v_and_b32_e32 v8, 0xffff, v11
	v_add_co_u32 v5, vcc_lo, v0, v5
	s_wait_alu 0xfffd
	s_delay_alu instid0(VALU_DEP_4) | instskip(NEXT) | instid1(VALU_DEP_3)
	v_add_co_ci_u32_e32 v6, vcc_lo, v1, v6, vcc_lo
	v_lshl_or_b32 v7, v7, 16, v8
	global_store_b32 v[5:6], v7, off
	global_load_b32 v7, v42, s[12:13] offset:2016
	v_add_nc_u32_e32 v5, 0x600, v46
	ds_load_2addr_b32 v[5:6], v5 offset0:120 offset1:176
	s_wait_dscnt 0x0
	v_lshrrev_b32_e32 v8, 16, v5
	s_wait_loadcnt 0x0
	v_lshrrev_b32_e32 v9, 16, v7
	s_delay_alu instid0(VALU_DEP_1) | instskip(SKIP_1) | instid1(VALU_DEP_2)
	v_mul_f16_e32 v10, v8, v9
	v_mul_f16_e32 v9, v5, v9
	v_fmac_f16_e32 v10, v5, v7
	s_delay_alu instid0(VALU_DEP_2) | instskip(NEXT) | instid1(VALU_DEP_2)
	v_fma_f16 v5, v7, v8, -v9
	v_cvt_f32_f16_e32 v7, v10
	s_delay_alu instid0(VALU_DEP_2) | instskip(NEXT) | instid1(VALU_DEP_2)
	v_cvt_f32_f16_e32 v5, v5
	v_cvt_f64_f32_e32 v[7:8], v7
	s_delay_alu instid0(VALU_DEP_2) | instskip(NEXT) | instid1(VALU_DEP_2)
	v_cvt_f64_f32_e32 v[9:10], v5
	v_mul_f64_e32 v[7:8], s[8:9], v[7:8]
	s_delay_alu instid0(VALU_DEP_2) | instskip(NEXT) | instid1(VALU_DEP_2)
	v_mul_f64_e32 v[9:10], s[8:9], v[9:10]
	v_and_or_b32 v5, 0x1ff, v8, v7
	s_delay_alu instid0(VALU_DEP_2)
	v_and_or_b32 v9, 0x1ff, v10, v9
	v_lshrrev_b32_e32 v7, 8, v8
	v_bfe_u32 v11, v8, 20, 11
	v_lshrrev_b32_e32 v12, 8, v10
	v_cmp_ne_u32_e32 vcc_lo, 0, v5
	v_bfe_u32 v13, v10, 20, 11
	v_lshrrev_b32_e32 v8, 16, v8
	v_sub_nc_u32_e32 v14, 0x3f1, v11
	v_add_nc_u32_e32 v11, 0xfffffc10, v11
	s_wait_alu 0xfffd
	v_cndmask_b32_e64 v5, 0, 1, vcc_lo
	v_cmp_ne_u32_e32 vcc_lo, 0, v9
	v_lshrrev_b32_e32 v10, 16, v10
	s_delay_alu instid0(VALU_DEP_3) | instskip(SKIP_4) | instid1(VALU_DEP_3)
	v_and_or_b32 v5, 0xffe, v7, v5
	s_wait_alu 0xfffd
	v_cndmask_b32_e64 v9, 0, 1, vcc_lo
	v_sub_nc_u32_e32 v7, 0x3f1, v13
	v_add_nc_u32_e32 v13, 0xfffffc10, v13
	v_and_or_b32 v9, 0xffe, v12, v9
	v_med3_i32 v12, v14, 0, 13
	v_or_b32_e32 v14, 0x1000, v5
	v_med3_i32 v7, v7, 0, 13
	s_delay_alu instid0(VALU_DEP_4) | instskip(NEXT) | instid1(VALU_DEP_3)
	v_or_b32_e32 v15, 0x1000, v9
	v_lshrrev_b32_e32 v16, v12, v14
	s_delay_alu instid0(VALU_DEP_2) | instskip(NEXT) | instid1(VALU_DEP_2)
	v_lshrrev_b32_e32 v17, v7, v15
	v_lshlrev_b32_e32 v12, v12, v16
	s_delay_alu instid0(VALU_DEP_2) | instskip(NEXT) | instid1(VALU_DEP_2)
	v_lshlrev_b32_e32 v7, v7, v17
	v_cmp_ne_u32_e32 vcc_lo, v12, v14
	v_lshl_or_b32 v14, v11, 12, v5
	s_wait_alu 0xfffd
	v_cndmask_b32_e64 v12, 0, 1, vcc_lo
	v_cmp_ne_u32_e32 vcc_lo, v7, v15
	v_lshl_or_b32 v15, v13, 12, v9
	s_delay_alu instid0(VALU_DEP_3) | instskip(SKIP_3) | instid1(VALU_DEP_2)
	v_or_b32_e32 v12, v16, v12
	s_wait_alu 0xfffd
	v_cndmask_b32_e64 v7, 0, 1, vcc_lo
	v_cmp_gt_i32_e32 vcc_lo, 1, v11
	v_or_b32_e32 v7, v17, v7
	s_wait_alu 0xfffd
	v_cndmask_b32_e32 v12, v14, v12, vcc_lo
	v_cmp_gt_i32_e32 vcc_lo, 1, v13
	s_wait_alu 0xfffd
	s_delay_alu instid0(VALU_DEP_2) | instskip(SKIP_2) | instid1(VALU_DEP_3)
	v_dual_cndmask_b32 v7, v15, v7 :: v_dual_and_b32 v14, 7, v12
	v_cmp_ne_u32_e32 vcc_lo, 0, v5
	v_lshrrev_b32_e32 v12, 2, v12
	v_cmp_eq_u32_e64 s0, 3, v14
	s_delay_alu instid0(VALU_DEP_4)
	v_and_b32_e32 v15, 7, v7
	s_wait_alu 0xfffd
	v_cndmask_b32_e64 v5, 0, 1, vcc_lo
	v_cmp_ne_u32_e32 vcc_lo, 0, v9
	v_lshrrev_b32_e32 v7, 2, v7
	v_cmp_lt_i32_e64 s1, 5, v15
	v_cmp_eq_u32_e64 s2, 3, v15
	s_wait_alu 0xfffd
	v_cndmask_b32_e64 v9, 0, 1, vcc_lo
	v_cmp_lt_i32_e32 vcc_lo, 5, v14
	v_lshl_or_b32 v5, v5, 9, 0x7c00
	s_delay_alu instid0(VALU_DEP_3)
	v_lshl_or_b32 v9, v9, 9, 0x7c00
	s_or_b32 vcc_lo, s0, vcc_lo
	s_wait_alu 0xfffe
	v_add_co_ci_u32_e32 v12, vcc_lo, 0, v12, vcc_lo
	s_or_b32 vcc_lo, s2, s1
	s_wait_alu 0xfffe
	v_add_co_ci_u32_e32 v7, vcc_lo, 0, v7, vcc_lo
	v_cmp_gt_i32_e32 vcc_lo, 31, v11
	s_wait_alu 0xfffd
	v_cndmask_b32_e32 v12, 0x7c00, v12, vcc_lo
	v_cmp_gt_i32_e32 vcc_lo, 31, v13
	s_wait_alu 0xfffd
	v_cndmask_b32_e32 v7, 0x7c00, v7, vcc_lo
	v_cmp_eq_u32_e32 vcc_lo, 0x40f, v11
	s_wait_alu 0xfffd
	v_cndmask_b32_e32 v5, v12, v5, vcc_lo
	v_cmp_eq_u32_e32 vcc_lo, 0x40f, v13
	s_delay_alu instid0(VALU_DEP_2) | instskip(SKIP_3) | instid1(VALU_DEP_2)
	v_and_or_b32 v8, 0x8000, v8, v5
	s_wait_alu 0xfffd
	v_cndmask_b32_e32 v7, v7, v9, vcc_lo
	v_mad_co_u64_u32 v[4:5], null, 0x1c0, s5, v[4:5]
	v_and_or_b32 v5, 0x8000, v10, v7
	v_and_b32_e32 v7, 0xffff, v8
	s_delay_alu instid0(VALU_DEP_1)
	v_lshl_or_b32 v5, v5, 16, v7
	v_lshrrev_b32_e32 v7, 16, v6
	global_store_b32 v[3:4], v5, off
	global_load_b32 v5, v42, s[12:13] offset:2240
	s_wait_loadcnt 0x0
	v_lshrrev_b32_e32 v8, 16, v5
	s_delay_alu instid0(VALU_DEP_1) | instskip(SKIP_1) | instid1(VALU_DEP_2)
	v_mul_f16_e32 v9, v7, v8
	v_mul_f16_e32 v8, v6, v8
	v_fmac_f16_e32 v9, v6, v5
	s_delay_alu instid0(VALU_DEP_2) | instskip(NEXT) | instid1(VALU_DEP_2)
	v_fma_f16 v5, v5, v7, -v8
	v_cvt_f32_f16_e32 v6, v9
	s_delay_alu instid0(VALU_DEP_2) | instskip(NEXT) | instid1(VALU_DEP_2)
	v_cvt_f32_f16_e32 v7, v5
	v_cvt_f64_f32_e32 v[5:6], v6
	s_delay_alu instid0(VALU_DEP_2) | instskip(NEXT) | instid1(VALU_DEP_2)
	v_cvt_f64_f32_e32 v[7:8], v7
	v_mul_f64_e32 v[5:6], s[8:9], v[5:6]
	s_delay_alu instid0(VALU_DEP_2) | instskip(NEXT) | instid1(VALU_DEP_2)
	v_mul_f64_e32 v[7:8], s[8:9], v[7:8]
	v_and_or_b32 v5, 0x1ff, v6, v5
	s_delay_alu instid0(VALU_DEP_2)
	v_and_or_b32 v7, 0x1ff, v8, v7
	v_lshrrev_b32_e32 v9, 8, v6
	v_bfe_u32 v10, v6, 20, 11
	v_lshrrev_b32_e32 v11, 8, v8
	v_cmp_ne_u32_e32 vcc_lo, 0, v5
	v_bfe_u32 v12, v8, 20, 11
	v_lshrrev_b32_e32 v6, 16, v6
	v_sub_nc_u32_e32 v13, 0x3f1, v10
	v_add_nc_u32_e32 v10, 0xfffffc10, v10
	s_wait_alu 0xfffd
	v_cndmask_b32_e64 v5, 0, 1, vcc_lo
	v_cmp_ne_u32_e32 vcc_lo, 0, v7
	v_lshrrev_b32_e32 v8, 16, v8
	s_delay_alu instid0(VALU_DEP_3) | instskip(SKIP_4) | instid1(VALU_DEP_3)
	v_and_or_b32 v5, 0xffe, v9, v5
	s_wait_alu 0xfffd
	v_cndmask_b32_e64 v7, 0, 1, vcc_lo
	v_sub_nc_u32_e32 v9, 0x3f1, v12
	v_add_nc_u32_e32 v12, 0xfffffc10, v12
	v_and_or_b32 v7, 0xffe, v11, v7
	v_med3_i32 v11, v13, 0, 13
	v_or_b32_e32 v13, 0x1000, v5
	v_med3_i32 v9, v9, 0, 13
	s_delay_alu instid0(VALU_DEP_4) | instskip(NEXT) | instid1(VALU_DEP_3)
	v_or_b32_e32 v14, 0x1000, v7
	v_lshrrev_b32_e32 v15, v11, v13
	s_delay_alu instid0(VALU_DEP_2) | instskip(NEXT) | instid1(VALU_DEP_2)
	v_lshrrev_b32_e32 v16, v9, v14
	v_lshlrev_b32_e32 v11, v11, v15
	s_delay_alu instid0(VALU_DEP_2) | instskip(NEXT) | instid1(VALU_DEP_2)
	v_lshlrev_b32_e32 v9, v9, v16
	v_cmp_ne_u32_e32 vcc_lo, v11, v13
	v_lshl_or_b32 v13, v10, 12, v5
	s_wait_alu 0xfffd
	v_cndmask_b32_e64 v11, 0, 1, vcc_lo
	v_cmp_ne_u32_e32 vcc_lo, v9, v14
	v_lshl_or_b32 v14, v12, 12, v7
	s_delay_alu instid0(VALU_DEP_3) | instskip(SKIP_3) | instid1(VALU_DEP_2)
	v_or_b32_e32 v11, v15, v11
	s_wait_alu 0xfffd
	v_cndmask_b32_e64 v9, 0, 1, vcc_lo
	v_cmp_gt_i32_e32 vcc_lo, 1, v10
	v_or_b32_e32 v9, v16, v9
	s_wait_alu 0xfffd
	v_cndmask_b32_e32 v11, v13, v11, vcc_lo
	v_cmp_gt_i32_e32 vcc_lo, 1, v12
	s_delay_alu instid0(VALU_DEP_2)
	v_and_b32_e32 v13, 7, v11
	s_wait_alu 0xfffd
	v_cndmask_b32_e32 v9, v14, v9, vcc_lo
	v_cmp_ne_u32_e32 vcc_lo, 0, v5
	v_lshrrev_b32_e32 v11, 2, v11
	v_cmp_eq_u32_e64 s0, 3, v13
	s_delay_alu instid0(VALU_DEP_4)
	v_and_b32_e32 v14, 7, v9
	s_wait_alu 0xfffd
	v_cndmask_b32_e64 v5, 0, 1, vcc_lo
	v_cmp_ne_u32_e32 vcc_lo, 0, v7
	v_lshrrev_b32_e32 v9, 2, v9
	v_cmp_lt_i32_e64 s1, 5, v14
	v_cmp_eq_u32_e64 s2, 3, v14
	s_wait_alu 0xfffd
	v_cndmask_b32_e64 v7, 0, 1, vcc_lo
	v_cmp_lt_i32_e32 vcc_lo, 5, v13
	v_lshl_or_b32 v5, v5, 9, 0x7c00
	s_delay_alu instid0(VALU_DEP_3)
	v_lshl_or_b32 v7, v7, 9, 0x7c00
	s_or_b32 vcc_lo, s0, vcc_lo
	s_wait_alu 0xfffe
	v_add_co_ci_u32_e32 v11, vcc_lo, 0, v11, vcc_lo
	s_or_b32 vcc_lo, s2, s1
	s_wait_alu 0xfffe
	v_add_co_ci_u32_e32 v9, vcc_lo, 0, v9, vcc_lo
	v_cmp_gt_i32_e32 vcc_lo, 31, v10
	s_wait_alu 0xfffd
	v_cndmask_b32_e32 v11, 0x7c00, v11, vcc_lo
	v_cmp_gt_i32_e32 vcc_lo, 31, v12
	s_wait_alu 0xfffd
	v_cndmask_b32_e32 v9, 0x7c00, v9, vcc_lo
	v_cmp_eq_u32_e32 vcc_lo, 0x40f, v10
	s_wait_alu 0xfffd
	v_cndmask_b32_e32 v5, v11, v5, vcc_lo
	v_cmp_eq_u32_e32 vcc_lo, 0x40f, v12
	s_delay_alu instid0(VALU_DEP_2)
	v_and_or_b32 v5, 0x8000, v6, v5
	s_wait_alu 0xfffd
	v_cndmask_b32_e32 v7, v9, v7, vcc_lo
	v_add_co_u32 v3, vcc_lo, v3, s6
	s_wait_alu 0xfffd
	v_add_co_ci_u32_e32 v4, vcc_lo, s7, v4, vcc_lo
	s_delay_alu instid0(VALU_DEP_3) | instskip(SKIP_1) | instid1(VALU_DEP_1)
	v_and_or_b32 v6, 0x8000, v8, v7
	v_and_b32_e32 v5, 0xffff, v5
	v_lshl_or_b32 v5, v6, 16, v5
	global_store_b32 v[3:4], v5, off
	global_load_b32 v7, v42, s[12:13] offset:2464
	ds_load_2addr_b32 v[5:6], v2 offset0:104 offset1:160
	s_wait_dscnt 0x0
	v_lshrrev_b32_e32 v2, 16, v5
	s_wait_loadcnt 0x0
	v_lshrrev_b32_e32 v8, 16, v7
	s_delay_alu instid0(VALU_DEP_1) | instskip(SKIP_1) | instid1(VALU_DEP_2)
	v_mul_f16_e32 v9, v2, v8
	v_mul_f16_e32 v8, v5, v8
	v_fmac_f16_e32 v9, v5, v7
	s_delay_alu instid0(VALU_DEP_2) | instskip(NEXT) | instid1(VALU_DEP_2)
	v_fma_f16 v2, v7, v2, -v8
	v_cvt_f32_f16_e32 v5, v9
	s_delay_alu instid0(VALU_DEP_2) | instskip(NEXT) | instid1(VALU_DEP_2)
	v_cvt_f32_f16_e32 v2, v2
	v_cvt_f64_f32_e32 v[7:8], v5
	s_delay_alu instid0(VALU_DEP_2) | instskip(NEXT) | instid1(VALU_DEP_2)
	v_cvt_f64_f32_e32 v[9:10], v2
	v_mul_f64_e32 v[7:8], s[8:9], v[7:8]
	s_delay_alu instid0(VALU_DEP_2) | instskip(NEXT) | instid1(VALU_DEP_2)
	v_mul_f64_e32 v[9:10], s[8:9], v[9:10]
	v_and_or_b32 v2, 0x1ff, v8, v7
	s_delay_alu instid0(VALU_DEP_2)
	v_and_or_b32 v9, 0x1ff, v10, v9
	v_lshrrev_b32_e32 v5, 8, v8
	v_bfe_u32 v7, v8, 20, 11
	v_lshrrev_b32_e32 v11, 8, v10
	v_cmp_ne_u32_e32 vcc_lo, 0, v2
	v_bfe_u32 v12, v10, 20, 11
	v_lshrrev_b32_e32 v8, 16, v8
	v_sub_nc_u32_e32 v13, 0x3f1, v7
	v_add_nc_u32_e32 v7, 0xfffffc10, v7
	s_wait_alu 0xfffd
	v_cndmask_b32_e64 v2, 0, 1, vcc_lo
	v_cmp_ne_u32_e32 vcc_lo, 0, v9
	s_delay_alu instid0(VALU_DEP_2) | instskip(SKIP_4) | instid1(VALU_DEP_3)
	v_and_or_b32 v2, 0xffe, v5, v2
	s_wait_alu 0xfffd
	v_cndmask_b32_e64 v9, 0, 1, vcc_lo
	v_sub_nc_u32_e32 v5, 0x3f1, v12
	v_add_nc_u32_e32 v12, 0xfffffc10, v12
	v_and_or_b32 v9, 0xffe, v11, v9
	v_med3_i32 v11, v13, 0, 13
	v_or_b32_e32 v13, 0x1000, v2
	v_med3_i32 v5, v5, 0, 13
	s_delay_alu instid0(VALU_DEP_4) | instskip(NEXT) | instid1(VALU_DEP_3)
	v_or_b32_e32 v14, 0x1000, v9
	v_lshrrev_b32_e32 v15, v11, v13
	s_delay_alu instid0(VALU_DEP_2) | instskip(NEXT) | instid1(VALU_DEP_2)
	v_lshrrev_b32_e32 v16, v5, v14
	v_lshlrev_b32_e32 v11, v11, v15
	s_delay_alu instid0(VALU_DEP_2) | instskip(NEXT) | instid1(VALU_DEP_2)
	v_lshlrev_b32_e32 v5, v5, v16
	v_cmp_ne_u32_e32 vcc_lo, v11, v13
	v_lshl_or_b32 v13, v7, 12, v2
	s_wait_alu 0xfffd
	v_cndmask_b32_e64 v11, 0, 1, vcc_lo
	v_cmp_ne_u32_e32 vcc_lo, v5, v14
	v_lshl_or_b32 v14, v12, 12, v9
	s_delay_alu instid0(VALU_DEP_3) | instskip(SKIP_3) | instid1(VALU_DEP_2)
	v_or_b32_e32 v11, v15, v11
	s_wait_alu 0xfffd
	v_cndmask_b32_e64 v5, 0, 1, vcc_lo
	v_cmp_gt_i32_e32 vcc_lo, 1, v7
	v_or_b32_e32 v5, v16, v5
	s_wait_alu 0xfffd
	v_cndmask_b32_e32 v11, v13, v11, vcc_lo
	v_cmp_gt_i32_e32 vcc_lo, 1, v12
	s_delay_alu instid0(VALU_DEP_2)
	v_and_b32_e32 v13, 7, v11
	s_wait_alu 0xfffd
	v_cndmask_b32_e32 v5, v14, v5, vcc_lo
	v_cmp_ne_u32_e32 vcc_lo, 0, v2
	v_lshrrev_b32_e32 v11, 2, v11
	v_cmp_eq_u32_e64 s0, 3, v13
	s_delay_alu instid0(VALU_DEP_4)
	v_and_b32_e32 v14, 7, v5
	s_wait_alu 0xfffd
	v_cndmask_b32_e64 v2, 0, 1, vcc_lo
	v_cmp_ne_u32_e32 vcc_lo, 0, v9
	v_lshrrev_b32_e32 v5, 2, v5
	v_cmp_lt_i32_e64 s1, 5, v14
	v_cmp_eq_u32_e64 s2, 3, v14
	s_wait_alu 0xfffd
	v_cndmask_b32_e64 v9, 0, 1, vcc_lo
	v_cmp_lt_i32_e32 vcc_lo, 5, v13
	v_lshl_or_b32 v2, v2, 9, 0x7c00
	s_delay_alu instid0(VALU_DEP_3)
	v_lshl_or_b32 v9, v9, 9, 0x7c00
	s_or_b32 vcc_lo, s0, vcc_lo
	s_wait_alu 0xfffe
	v_add_co_ci_u32_e32 v11, vcc_lo, 0, v11, vcc_lo
	s_or_b32 vcc_lo, s2, s1
	s_wait_alu 0xfffe
	v_add_co_ci_u32_e32 v5, vcc_lo, 0, v5, vcc_lo
	v_cmp_gt_i32_e32 vcc_lo, 31, v7
	s_wait_alu 0xfffd
	v_cndmask_b32_e32 v11, 0x7c00, v11, vcc_lo
	v_cmp_gt_i32_e32 vcc_lo, 31, v12
	s_wait_alu 0xfffd
	v_cndmask_b32_e32 v5, 0x7c00, v5, vcc_lo
	v_cmp_eq_u32_e32 vcc_lo, 0x40f, v7
	v_lshrrev_b32_e32 v7, 16, v10
	s_wait_alu 0xfffd
	v_cndmask_b32_e32 v2, v11, v2, vcc_lo
	v_cmp_eq_u32_e32 vcc_lo, 0x40f, v12
	s_delay_alu instid0(VALU_DEP_2) | instskip(SKIP_2) | instid1(VALU_DEP_1)
	v_and_or_b32 v2, 0x8000, v8, v2
	s_wait_alu 0xfffd
	v_cndmask_b32_e32 v5, v5, v9, vcc_lo
	v_and_or_b32 v5, 0x8000, v7, v5
	s_delay_alu instid0(VALU_DEP_3) | instskip(SKIP_3) | instid1(VALU_DEP_3)
	v_and_b32_e32 v7, 0xffff, v2
	v_add_co_u32 v2, vcc_lo, v3, s6
	s_wait_alu 0xfffd
	v_add_co_ci_u32_e32 v3, vcc_lo, s7, v4, vcc_lo
	v_lshl_or_b32 v4, v5, 16, v7
	v_lshrrev_b32_e32 v5, 16, v6
	global_store_b32 v[2:3], v4, off
	global_load_b32 v4, v42, s[12:13] offset:2688
	s_wait_loadcnt 0x0
	v_lshrrev_b32_e32 v7, 16, v4
	s_delay_alu instid0(VALU_DEP_1) | instskip(SKIP_1) | instid1(VALU_DEP_2)
	v_mul_f16_e32 v8, v5, v7
	v_mul_f16_e32 v7, v6, v7
	v_fmac_f16_e32 v8, v6, v4
	s_delay_alu instid0(VALU_DEP_2) | instskip(NEXT) | instid1(VALU_DEP_2)
	v_fma_f16 v4, v4, v5, -v7
	v_cvt_f32_f16_e32 v5, v8
	s_delay_alu instid0(VALU_DEP_2) | instskip(NEXT) | instid1(VALU_DEP_2)
	v_cvt_f32_f16_e32 v6, v4
	v_cvt_f64_f32_e32 v[4:5], v5
	s_delay_alu instid0(VALU_DEP_2) | instskip(NEXT) | instid1(VALU_DEP_2)
	v_cvt_f64_f32_e32 v[6:7], v6
	v_mul_f64_e32 v[4:5], s[8:9], v[4:5]
	s_delay_alu instid0(VALU_DEP_2) | instskip(NEXT) | instid1(VALU_DEP_2)
	v_mul_f64_e32 v[6:7], s[8:9], v[6:7]
	v_and_or_b32 v4, 0x1ff, v5, v4
	s_delay_alu instid0(VALU_DEP_2)
	v_and_or_b32 v6, 0x1ff, v7, v6
	v_lshrrev_b32_e32 v8, 8, v5
	v_bfe_u32 v9, v5, 20, 11
	v_lshrrev_b32_e32 v10, 8, v7
	v_cmp_ne_u32_e32 vcc_lo, 0, v4
	v_bfe_u32 v11, v7, 20, 11
	v_lshrrev_b32_e32 v5, 16, v5
	v_sub_nc_u32_e32 v12, 0x3f1, v9
	v_add_nc_u32_e32 v9, 0xfffffc10, v9
	s_wait_alu 0xfffd
	v_cndmask_b32_e64 v4, 0, 1, vcc_lo
	v_cmp_ne_u32_e32 vcc_lo, 0, v6
	v_lshrrev_b32_e32 v7, 16, v7
	s_delay_alu instid0(VALU_DEP_3) | instskip(SKIP_4) | instid1(VALU_DEP_3)
	v_and_or_b32 v4, 0xffe, v8, v4
	s_wait_alu 0xfffd
	v_cndmask_b32_e64 v6, 0, 1, vcc_lo
	v_sub_nc_u32_e32 v8, 0x3f1, v11
	v_add_nc_u32_e32 v11, 0xfffffc10, v11
	v_and_or_b32 v6, 0xffe, v10, v6
	v_med3_i32 v10, v12, 0, 13
	v_or_b32_e32 v12, 0x1000, v4
	v_med3_i32 v8, v8, 0, 13
	s_delay_alu instid0(VALU_DEP_4) | instskip(NEXT) | instid1(VALU_DEP_3)
	v_or_b32_e32 v13, 0x1000, v6
	v_lshrrev_b32_e32 v14, v10, v12
	s_delay_alu instid0(VALU_DEP_2) | instskip(NEXT) | instid1(VALU_DEP_2)
	v_lshrrev_b32_e32 v15, v8, v13
	v_lshlrev_b32_e32 v10, v10, v14
	s_delay_alu instid0(VALU_DEP_2) | instskip(NEXT) | instid1(VALU_DEP_2)
	v_lshlrev_b32_e32 v8, v8, v15
	v_cmp_ne_u32_e32 vcc_lo, v10, v12
	v_lshl_or_b32 v12, v9, 12, v4
	s_wait_alu 0xfffd
	v_cndmask_b32_e64 v10, 0, 1, vcc_lo
	v_cmp_ne_u32_e32 vcc_lo, v8, v13
	v_lshl_or_b32 v13, v11, 12, v6
	s_delay_alu instid0(VALU_DEP_3) | instskip(SKIP_3) | instid1(VALU_DEP_2)
	v_or_b32_e32 v10, v14, v10
	s_wait_alu 0xfffd
	v_cndmask_b32_e64 v8, 0, 1, vcc_lo
	v_cmp_gt_i32_e32 vcc_lo, 1, v9
	v_or_b32_e32 v8, v15, v8
	s_wait_alu 0xfffd
	v_cndmask_b32_e32 v10, v12, v10, vcc_lo
	v_cmp_gt_i32_e32 vcc_lo, 1, v11
	s_delay_alu instid0(VALU_DEP_2)
	v_and_b32_e32 v12, 7, v10
	s_wait_alu 0xfffd
	v_cndmask_b32_e32 v8, v13, v8, vcc_lo
	v_cmp_ne_u32_e32 vcc_lo, 0, v4
	v_lshrrev_b32_e32 v10, 2, v10
	v_cmp_eq_u32_e64 s0, 3, v12
	s_delay_alu instid0(VALU_DEP_4)
	v_and_b32_e32 v13, 7, v8
	s_wait_alu 0xfffd
	v_cndmask_b32_e64 v4, 0, 1, vcc_lo
	v_cmp_ne_u32_e32 vcc_lo, 0, v6
	v_lshrrev_b32_e32 v8, 2, v8
	v_cmp_lt_i32_e64 s1, 5, v13
	v_cmp_eq_u32_e64 s2, 3, v13
	s_wait_alu 0xfffd
	v_cndmask_b32_e64 v6, 0, 1, vcc_lo
	v_cmp_lt_i32_e32 vcc_lo, 5, v12
	v_lshl_or_b32 v4, v4, 9, 0x7c00
	s_delay_alu instid0(VALU_DEP_3)
	v_lshl_or_b32 v6, v6, 9, 0x7c00
	s_or_b32 vcc_lo, s0, vcc_lo
	s_wait_alu 0xfffe
	v_add_co_ci_u32_e32 v10, vcc_lo, 0, v10, vcc_lo
	s_or_b32 vcc_lo, s2, s1
	s_wait_alu 0xfffe
	v_add_co_ci_u32_e32 v8, vcc_lo, 0, v8, vcc_lo
	v_cmp_gt_i32_e32 vcc_lo, 31, v9
	s_wait_alu 0xfffd
	v_cndmask_b32_e32 v10, 0x7c00, v10, vcc_lo
	v_cmp_gt_i32_e32 vcc_lo, 31, v11
	s_wait_alu 0xfffd
	v_cndmask_b32_e32 v8, 0x7c00, v8, vcc_lo
	v_cmp_eq_u32_e32 vcc_lo, 0x40f, v9
	s_wait_alu 0xfffd
	v_cndmask_b32_e32 v4, v10, v4, vcc_lo
	v_cmp_eq_u32_e32 vcc_lo, 0x40f, v11
	s_delay_alu instid0(VALU_DEP_2)
	v_and_or_b32 v4, 0x8000, v5, v4
	s_wait_alu 0xfffd
	v_cndmask_b32_e32 v6, v8, v6, vcc_lo
	v_add_co_u32 v2, vcc_lo, v2, s6
	s_wait_alu 0xfffd
	v_add_co_ci_u32_e32 v3, vcc_lo, s7, v3, vcc_lo
	s_delay_alu instid0(VALU_DEP_3) | instskip(SKIP_1) | instid1(VALU_DEP_1)
	v_and_or_b32 v5, 0x8000, v7, v6
	v_and_b32_e32 v4, 0xffff, v4
	v_lshl_or_b32 v4, v5, 16, v4
	global_store_b32 v[2:3], v4, off
	global_load_b32 v6, v42, s[12:13] offset:2912
	v_add_nc_u32_e32 v4, 0xa00, v46
	ds_load_2addr_b32 v[4:5], v4 offset0:88 offset1:144
	s_wait_dscnt 0x0
	v_lshrrev_b32_e32 v7, 16, v4
	s_wait_loadcnt 0x0
	v_lshrrev_b32_e32 v8, 16, v6
	s_delay_alu instid0(VALU_DEP_1) | instskip(SKIP_1) | instid1(VALU_DEP_2)
	v_mul_f16_e32 v9, v7, v8
	v_mul_f16_e32 v8, v4, v8
	v_fmac_f16_e32 v9, v4, v6
	s_delay_alu instid0(VALU_DEP_2) | instskip(NEXT) | instid1(VALU_DEP_2)
	v_fma_f16 v4, v6, v7, -v8
	v_cvt_f32_f16_e32 v6, v9
	s_delay_alu instid0(VALU_DEP_2) | instskip(NEXT) | instid1(VALU_DEP_2)
	v_cvt_f32_f16_e32 v4, v4
	v_cvt_f64_f32_e32 v[6:7], v6
	s_delay_alu instid0(VALU_DEP_2) | instskip(NEXT) | instid1(VALU_DEP_2)
	v_cvt_f64_f32_e32 v[8:9], v4
	v_mul_f64_e32 v[6:7], s[8:9], v[6:7]
	s_delay_alu instid0(VALU_DEP_2) | instskip(NEXT) | instid1(VALU_DEP_2)
	v_mul_f64_e32 v[8:9], s[8:9], v[8:9]
	v_and_or_b32 v4, 0x1ff, v7, v6
	s_delay_alu instid0(VALU_DEP_2)
	v_and_or_b32 v8, 0x1ff, v9, v8
	v_lshrrev_b32_e32 v6, 8, v7
	v_bfe_u32 v10, v7, 20, 11
	v_lshrrev_b32_e32 v11, 8, v9
	v_cmp_ne_u32_e32 vcc_lo, 0, v4
	v_bfe_u32 v12, v9, 20, 11
	v_lshrrev_b32_e32 v7, 16, v7
	v_sub_nc_u32_e32 v13, 0x3f1, v10
	v_add_nc_u32_e32 v10, 0xfffffc10, v10
	s_wait_alu 0xfffd
	v_cndmask_b32_e64 v4, 0, 1, vcc_lo
	v_cmp_ne_u32_e32 vcc_lo, 0, v8
	v_lshrrev_b32_e32 v9, 16, v9
	s_delay_alu instid0(VALU_DEP_3) | instskip(SKIP_4) | instid1(VALU_DEP_3)
	v_and_or_b32 v4, 0xffe, v6, v4
	s_wait_alu 0xfffd
	v_cndmask_b32_e64 v8, 0, 1, vcc_lo
	v_sub_nc_u32_e32 v6, 0x3f1, v12
	v_add_nc_u32_e32 v12, 0xfffffc10, v12
	v_and_or_b32 v8, 0xffe, v11, v8
	v_med3_i32 v11, v13, 0, 13
	v_or_b32_e32 v13, 0x1000, v4
	v_med3_i32 v6, v6, 0, 13
	s_delay_alu instid0(VALU_DEP_4) | instskip(NEXT) | instid1(VALU_DEP_3)
	v_or_b32_e32 v14, 0x1000, v8
	v_lshrrev_b32_e32 v15, v11, v13
	s_delay_alu instid0(VALU_DEP_2) | instskip(NEXT) | instid1(VALU_DEP_2)
	v_lshrrev_b32_e32 v16, v6, v14
	v_lshlrev_b32_e32 v11, v11, v15
	s_delay_alu instid0(VALU_DEP_2) | instskip(NEXT) | instid1(VALU_DEP_2)
	v_lshlrev_b32_e32 v6, v6, v16
	v_cmp_ne_u32_e32 vcc_lo, v11, v13
	v_lshl_or_b32 v13, v10, 12, v4
	s_wait_alu 0xfffd
	v_cndmask_b32_e64 v11, 0, 1, vcc_lo
	v_cmp_ne_u32_e32 vcc_lo, v6, v14
	v_lshl_or_b32 v14, v12, 12, v8
	s_delay_alu instid0(VALU_DEP_3) | instskip(SKIP_3) | instid1(VALU_DEP_2)
	v_or_b32_e32 v11, v15, v11
	s_wait_alu 0xfffd
	v_cndmask_b32_e64 v6, 0, 1, vcc_lo
	v_cmp_gt_i32_e32 vcc_lo, 1, v10
	v_or_b32_e32 v6, v16, v6
	s_wait_alu 0xfffd
	v_cndmask_b32_e32 v11, v13, v11, vcc_lo
	v_cmp_gt_i32_e32 vcc_lo, 1, v12
	s_wait_alu 0xfffd
	s_delay_alu instid0(VALU_DEP_2) | instskip(SKIP_2) | instid1(VALU_DEP_3)
	v_dual_cndmask_b32 v6, v14, v6 :: v_dual_and_b32 v13, 7, v11
	v_cmp_ne_u32_e32 vcc_lo, 0, v4
	v_lshrrev_b32_e32 v11, 2, v11
	v_cmp_eq_u32_e64 s0, 3, v13
	s_delay_alu instid0(VALU_DEP_4)
	v_and_b32_e32 v14, 7, v6
	s_wait_alu 0xfffd
	v_cndmask_b32_e64 v4, 0, 1, vcc_lo
	v_cmp_ne_u32_e32 vcc_lo, 0, v8
	v_lshrrev_b32_e32 v6, 2, v6
	v_cmp_lt_i32_e64 s1, 5, v14
	v_cmp_eq_u32_e64 s2, 3, v14
	s_wait_alu 0xfffd
	v_cndmask_b32_e64 v8, 0, 1, vcc_lo
	v_cmp_lt_i32_e32 vcc_lo, 5, v13
	v_lshl_or_b32 v4, v4, 9, 0x7c00
	s_delay_alu instid0(VALU_DEP_3)
	v_lshl_or_b32 v8, v8, 9, 0x7c00
	s_or_b32 vcc_lo, s0, vcc_lo
	s_wait_alu 0xfffe
	v_add_co_ci_u32_e32 v11, vcc_lo, 0, v11, vcc_lo
	s_or_b32 vcc_lo, s2, s1
	s_wait_alu 0xfffe
	v_add_co_ci_u32_e32 v6, vcc_lo, 0, v6, vcc_lo
	v_cmp_gt_i32_e32 vcc_lo, 31, v10
	s_wait_alu 0xfffd
	v_cndmask_b32_e32 v11, 0x7c00, v11, vcc_lo
	v_cmp_gt_i32_e32 vcc_lo, 31, v12
	s_wait_alu 0xfffd
	v_cndmask_b32_e32 v6, 0x7c00, v6, vcc_lo
	v_cmp_eq_u32_e32 vcc_lo, 0x40f, v10
	s_wait_alu 0xfffd
	v_cndmask_b32_e32 v4, v11, v4, vcc_lo
	v_cmp_eq_u32_e32 vcc_lo, 0x40f, v12
	s_delay_alu instid0(VALU_DEP_2)
	v_and_or_b32 v4, 0x8000, v7, v4
	s_wait_alu 0xfffd
	v_cndmask_b32_e32 v6, v6, v8, vcc_lo
	v_add_co_u32 v2, vcc_lo, v2, s6
	s_wait_alu 0xfffd
	v_add_co_ci_u32_e32 v3, vcc_lo, s7, v3, vcc_lo
	s_delay_alu instid0(VALU_DEP_3) | instskip(SKIP_1) | instid1(VALU_DEP_1)
	v_and_or_b32 v6, 0x8000, v9, v6
	v_and_b32_e32 v4, 0xffff, v4
	v_lshl_or_b32 v4, v6, 16, v4
	v_lshrrev_b32_e32 v6, 16, v5
	global_store_b32 v[2:3], v4, off
	global_load_b32 v4, v42, s[12:13] offset:3136
	s_wait_loadcnt 0x0
	v_lshrrev_b32_e32 v7, 16, v4
	s_delay_alu instid0(VALU_DEP_1) | instskip(SKIP_1) | instid1(VALU_DEP_2)
	v_mul_f16_e32 v8, v6, v7
	v_mul_f16_e32 v7, v5, v7
	v_fmac_f16_e32 v8, v5, v4
	s_delay_alu instid0(VALU_DEP_2) | instskip(NEXT) | instid1(VALU_DEP_2)
	v_fma_f16 v4, v4, v6, -v7
	v_cvt_f32_f16_e32 v5, v8
	s_delay_alu instid0(VALU_DEP_2) | instskip(NEXT) | instid1(VALU_DEP_2)
	v_cvt_f32_f16_e32 v6, v4
	v_cvt_f64_f32_e32 v[4:5], v5
	s_delay_alu instid0(VALU_DEP_2) | instskip(NEXT) | instid1(VALU_DEP_2)
	v_cvt_f64_f32_e32 v[6:7], v6
	v_mul_f64_e32 v[4:5], s[8:9], v[4:5]
	s_delay_alu instid0(VALU_DEP_2) | instskip(NEXT) | instid1(VALU_DEP_2)
	v_mul_f64_e32 v[6:7], s[8:9], v[6:7]
	v_and_or_b32 v4, 0x1ff, v5, v4
	s_delay_alu instid0(VALU_DEP_2)
	v_and_or_b32 v6, 0x1ff, v7, v6
	v_lshrrev_b32_e32 v8, 8, v5
	v_bfe_u32 v9, v5, 20, 11
	v_lshrrev_b32_e32 v10, 8, v7
	v_cmp_ne_u32_e32 vcc_lo, 0, v4
	v_bfe_u32 v11, v7, 20, 11
	v_lshrrev_b32_e32 v5, 16, v5
	v_sub_nc_u32_e32 v12, 0x3f1, v9
	v_add_nc_u32_e32 v9, 0xfffffc10, v9
	s_wait_alu 0xfffd
	v_cndmask_b32_e64 v4, 0, 1, vcc_lo
	v_cmp_ne_u32_e32 vcc_lo, 0, v6
	v_lshrrev_b32_e32 v7, 16, v7
	s_delay_alu instid0(VALU_DEP_3) | instskip(SKIP_4) | instid1(VALU_DEP_3)
	v_and_or_b32 v4, 0xffe, v8, v4
	s_wait_alu 0xfffd
	v_cndmask_b32_e64 v6, 0, 1, vcc_lo
	v_sub_nc_u32_e32 v8, 0x3f1, v11
	v_add_nc_u32_e32 v11, 0xfffffc10, v11
	v_and_or_b32 v6, 0xffe, v10, v6
	v_med3_i32 v10, v12, 0, 13
	v_or_b32_e32 v12, 0x1000, v4
	v_med3_i32 v8, v8, 0, 13
	s_delay_alu instid0(VALU_DEP_4) | instskip(NEXT) | instid1(VALU_DEP_3)
	v_or_b32_e32 v13, 0x1000, v6
	v_lshrrev_b32_e32 v14, v10, v12
	s_delay_alu instid0(VALU_DEP_2) | instskip(NEXT) | instid1(VALU_DEP_2)
	v_lshrrev_b32_e32 v15, v8, v13
	v_lshlrev_b32_e32 v10, v10, v14
	s_delay_alu instid0(VALU_DEP_2) | instskip(NEXT) | instid1(VALU_DEP_2)
	v_lshlrev_b32_e32 v8, v8, v15
	v_cmp_ne_u32_e32 vcc_lo, v10, v12
	v_lshl_or_b32 v12, v9, 12, v4
	s_wait_alu 0xfffd
	v_cndmask_b32_e64 v10, 0, 1, vcc_lo
	v_cmp_ne_u32_e32 vcc_lo, v8, v13
	v_lshl_or_b32 v13, v11, 12, v6
	s_delay_alu instid0(VALU_DEP_3) | instskip(SKIP_3) | instid1(VALU_DEP_2)
	v_or_b32_e32 v10, v14, v10
	s_wait_alu 0xfffd
	v_cndmask_b32_e64 v8, 0, 1, vcc_lo
	v_cmp_gt_i32_e32 vcc_lo, 1, v9
	v_or_b32_e32 v8, v15, v8
	s_wait_alu 0xfffd
	v_cndmask_b32_e32 v10, v12, v10, vcc_lo
	v_cmp_gt_i32_e32 vcc_lo, 1, v11
	s_delay_alu instid0(VALU_DEP_2)
	v_and_b32_e32 v12, 7, v10
	s_wait_alu 0xfffd
	v_cndmask_b32_e32 v8, v13, v8, vcc_lo
	v_cmp_ne_u32_e32 vcc_lo, 0, v4
	v_lshrrev_b32_e32 v10, 2, v10
	v_cmp_eq_u32_e64 s0, 3, v12
	s_delay_alu instid0(VALU_DEP_4)
	v_and_b32_e32 v13, 7, v8
	s_wait_alu 0xfffd
	v_cndmask_b32_e64 v4, 0, 1, vcc_lo
	v_cmp_ne_u32_e32 vcc_lo, 0, v6
	v_lshrrev_b32_e32 v8, 2, v8
	v_cmp_lt_i32_e64 s1, 5, v13
	v_cmp_eq_u32_e64 s2, 3, v13
	s_wait_alu 0xfffd
	v_cndmask_b32_e64 v6, 0, 1, vcc_lo
	v_cmp_lt_i32_e32 vcc_lo, 5, v12
	v_lshl_or_b32 v4, v4, 9, 0x7c00
	s_delay_alu instid0(VALU_DEP_3)
	v_lshl_or_b32 v6, v6, 9, 0x7c00
	s_or_b32 vcc_lo, s0, vcc_lo
	s_wait_alu 0xfffe
	v_add_co_ci_u32_e32 v10, vcc_lo, 0, v10, vcc_lo
	s_or_b32 vcc_lo, s2, s1
	s_wait_alu 0xfffe
	v_add_co_ci_u32_e32 v8, vcc_lo, 0, v8, vcc_lo
	v_cmp_gt_i32_e32 vcc_lo, 31, v9
	s_wait_alu 0xfffd
	v_cndmask_b32_e32 v10, 0x7c00, v10, vcc_lo
	v_cmp_gt_i32_e32 vcc_lo, 31, v11
	s_wait_alu 0xfffd
	v_cndmask_b32_e32 v8, 0x7c00, v8, vcc_lo
	v_cmp_eq_u32_e32 vcc_lo, 0x40f, v9
	s_wait_alu 0xfffd
	v_cndmask_b32_e32 v4, v10, v4, vcc_lo
	v_cmp_eq_u32_e32 vcc_lo, 0x40f, v11
	s_delay_alu instid0(VALU_DEP_2)
	v_and_or_b32 v4, 0x8000, v5, v4
	s_wait_alu 0xfffd
	v_cndmask_b32_e32 v6, v8, v6, vcc_lo
	v_add_co_u32 v2, vcc_lo, v2, s6
	s_wait_alu 0xfffd
	v_add_co_ci_u32_e32 v3, vcc_lo, s7, v3, vcc_lo
	s_delay_alu instid0(VALU_DEP_3) | instskip(SKIP_1) | instid1(VALU_DEP_1)
	v_and_or_b32 v5, 0x8000, v7, v6
	v_and_b32_e32 v4, 0xffff, v4
	v_lshl_or_b32 v4, v5, 16, v4
	global_store_b32 v[2:3], v4, off
	global_load_b32 v6, v42, s[12:13] offset:3360
	v_add_nc_u32_e32 v4, 0xc00, v46
	ds_load_2addr_b32 v[4:5], v4 offset0:72 offset1:128
	s_wait_dscnt 0x0
	v_lshrrev_b32_e32 v7, 16, v4
	s_wait_loadcnt 0x0
	v_lshrrev_b32_e32 v8, 16, v6
	s_delay_alu instid0(VALU_DEP_1) | instskip(SKIP_1) | instid1(VALU_DEP_2)
	v_mul_f16_e32 v9, v7, v8
	v_mul_f16_e32 v8, v4, v8
	v_fmac_f16_e32 v9, v4, v6
	s_delay_alu instid0(VALU_DEP_2) | instskip(NEXT) | instid1(VALU_DEP_2)
	v_fma_f16 v4, v6, v7, -v8
	v_cvt_f32_f16_e32 v6, v9
	s_delay_alu instid0(VALU_DEP_2) | instskip(NEXT) | instid1(VALU_DEP_2)
	v_cvt_f32_f16_e32 v4, v4
	v_cvt_f64_f32_e32 v[6:7], v6
	s_delay_alu instid0(VALU_DEP_2) | instskip(NEXT) | instid1(VALU_DEP_2)
	v_cvt_f64_f32_e32 v[8:9], v4
	v_mul_f64_e32 v[6:7], s[8:9], v[6:7]
	s_delay_alu instid0(VALU_DEP_2) | instskip(NEXT) | instid1(VALU_DEP_2)
	v_mul_f64_e32 v[8:9], s[8:9], v[8:9]
	v_and_or_b32 v4, 0x1ff, v7, v6
	s_delay_alu instid0(VALU_DEP_2)
	v_and_or_b32 v8, 0x1ff, v9, v8
	v_lshrrev_b32_e32 v6, 8, v7
	v_bfe_u32 v10, v7, 20, 11
	v_lshrrev_b32_e32 v11, 8, v9
	v_cmp_ne_u32_e32 vcc_lo, 0, v4
	v_bfe_u32 v12, v9, 20, 11
	v_lshrrev_b32_e32 v7, 16, v7
	v_sub_nc_u32_e32 v13, 0x3f1, v10
	v_add_nc_u32_e32 v10, 0xfffffc10, v10
	s_wait_alu 0xfffd
	v_cndmask_b32_e64 v4, 0, 1, vcc_lo
	v_cmp_ne_u32_e32 vcc_lo, 0, v8
	v_lshrrev_b32_e32 v9, 16, v9
	s_delay_alu instid0(VALU_DEP_3) | instskip(SKIP_4) | instid1(VALU_DEP_3)
	v_and_or_b32 v4, 0xffe, v6, v4
	s_wait_alu 0xfffd
	v_cndmask_b32_e64 v8, 0, 1, vcc_lo
	v_sub_nc_u32_e32 v6, 0x3f1, v12
	v_add_nc_u32_e32 v12, 0xfffffc10, v12
	v_and_or_b32 v8, 0xffe, v11, v8
	v_med3_i32 v11, v13, 0, 13
	v_or_b32_e32 v13, 0x1000, v4
	v_med3_i32 v6, v6, 0, 13
	s_delay_alu instid0(VALU_DEP_4) | instskip(NEXT) | instid1(VALU_DEP_3)
	v_or_b32_e32 v14, 0x1000, v8
	v_lshrrev_b32_e32 v15, v11, v13
	s_delay_alu instid0(VALU_DEP_2) | instskip(NEXT) | instid1(VALU_DEP_2)
	v_lshrrev_b32_e32 v16, v6, v14
	v_lshlrev_b32_e32 v11, v11, v15
	s_delay_alu instid0(VALU_DEP_2) | instskip(NEXT) | instid1(VALU_DEP_2)
	v_lshlrev_b32_e32 v6, v6, v16
	v_cmp_ne_u32_e32 vcc_lo, v11, v13
	v_lshl_or_b32 v13, v10, 12, v4
	s_wait_alu 0xfffd
	v_cndmask_b32_e64 v11, 0, 1, vcc_lo
	v_cmp_ne_u32_e32 vcc_lo, v6, v14
	v_lshl_or_b32 v14, v12, 12, v8
	s_delay_alu instid0(VALU_DEP_3) | instskip(SKIP_3) | instid1(VALU_DEP_2)
	v_or_b32_e32 v11, v15, v11
	s_wait_alu 0xfffd
	v_cndmask_b32_e64 v6, 0, 1, vcc_lo
	v_cmp_gt_i32_e32 vcc_lo, 1, v10
	v_or_b32_e32 v6, v16, v6
	s_wait_alu 0xfffd
	v_cndmask_b32_e32 v11, v13, v11, vcc_lo
	v_cmp_gt_i32_e32 vcc_lo, 1, v12
	s_wait_alu 0xfffd
	s_delay_alu instid0(VALU_DEP_2) | instskip(SKIP_2) | instid1(VALU_DEP_3)
	v_dual_cndmask_b32 v6, v14, v6 :: v_dual_and_b32 v13, 7, v11
	v_cmp_ne_u32_e32 vcc_lo, 0, v4
	v_lshrrev_b32_e32 v11, 2, v11
	v_cmp_eq_u32_e64 s0, 3, v13
	s_delay_alu instid0(VALU_DEP_4)
	v_and_b32_e32 v14, 7, v6
	s_wait_alu 0xfffd
	v_cndmask_b32_e64 v4, 0, 1, vcc_lo
	v_cmp_ne_u32_e32 vcc_lo, 0, v8
	v_lshrrev_b32_e32 v6, 2, v6
	v_cmp_lt_i32_e64 s1, 5, v14
	v_cmp_eq_u32_e64 s2, 3, v14
	s_wait_alu 0xfffd
	v_cndmask_b32_e64 v8, 0, 1, vcc_lo
	v_cmp_lt_i32_e32 vcc_lo, 5, v13
	v_lshl_or_b32 v4, v4, 9, 0x7c00
	s_delay_alu instid0(VALU_DEP_3)
	v_lshl_or_b32 v8, v8, 9, 0x7c00
	s_or_b32 vcc_lo, s0, vcc_lo
	s_wait_alu 0xfffe
	v_add_co_ci_u32_e32 v11, vcc_lo, 0, v11, vcc_lo
	s_or_b32 vcc_lo, s2, s1
	s_wait_alu 0xfffe
	v_add_co_ci_u32_e32 v6, vcc_lo, 0, v6, vcc_lo
	v_cmp_gt_i32_e32 vcc_lo, 31, v10
	s_wait_alu 0xfffd
	v_cndmask_b32_e32 v11, 0x7c00, v11, vcc_lo
	v_cmp_gt_i32_e32 vcc_lo, 31, v12
	s_wait_alu 0xfffd
	v_cndmask_b32_e32 v6, 0x7c00, v6, vcc_lo
	v_cmp_eq_u32_e32 vcc_lo, 0x40f, v10
	s_wait_alu 0xfffd
	v_cndmask_b32_e32 v4, v11, v4, vcc_lo
	v_cmp_eq_u32_e32 vcc_lo, 0x40f, v12
	s_delay_alu instid0(VALU_DEP_2)
	v_and_or_b32 v4, 0x8000, v7, v4
	s_wait_alu 0xfffd
	v_cndmask_b32_e32 v6, v6, v8, vcc_lo
	v_add_co_u32 v2, vcc_lo, v2, s6
	s_wait_alu 0xfffd
	v_add_co_ci_u32_e32 v3, vcc_lo, s7, v3, vcc_lo
	s_delay_alu instid0(VALU_DEP_3) | instskip(SKIP_1) | instid1(VALU_DEP_1)
	v_and_or_b32 v6, 0x8000, v9, v6
	v_and_b32_e32 v4, 0xffff, v4
	v_lshl_or_b32 v4, v6, 16, v4
	global_store_b32 v[2:3], v4, off
	global_load_b32 v2, v42, s[12:13] offset:3584
	v_lshrrev_b32_e32 v3, 16, v5
	s_wait_loadcnt 0x0
	v_lshrrev_b32_e32 v4, 16, v2
	s_delay_alu instid0(VALU_DEP_1) | instskip(SKIP_1) | instid1(VALU_DEP_2)
	v_mul_f16_e32 v6, v3, v4
	v_mul_f16_e32 v4, v5, v4
	v_fmac_f16_e32 v6, v5, v2
	s_delay_alu instid0(VALU_DEP_2) | instskip(NEXT) | instid1(VALU_DEP_2)
	v_fma_f16 v2, v2, v3, -v4
	v_cvt_f32_f16_e32 v3, v6
	s_delay_alu instid0(VALU_DEP_2) | instskip(NEXT) | instid1(VALU_DEP_2)
	v_cvt_f32_f16_e32 v4, v2
	v_cvt_f64_f32_e32 v[2:3], v3
	s_delay_alu instid0(VALU_DEP_2) | instskip(NEXT) | instid1(VALU_DEP_2)
	v_cvt_f64_f32_e32 v[4:5], v4
	v_mul_f64_e32 v[2:3], s[8:9], v[2:3]
	s_delay_alu instid0(VALU_DEP_2) | instskip(NEXT) | instid1(VALU_DEP_2)
	v_mul_f64_e32 v[4:5], s[8:9], v[4:5]
	v_and_or_b32 v2, 0x1ff, v3, v2
	s_delay_alu instid0(VALU_DEP_2)
	v_and_or_b32 v4, 0x1ff, v5, v4
	v_lshrrev_b32_e32 v6, 8, v3
	v_bfe_u32 v8, v3, 20, 11
	v_bfe_u32 v9, v5, 20, 11
	v_cmp_ne_u32_e32 vcc_lo, 0, v2
	v_lshrrev_b32_e32 v7, 8, v5
	v_lshrrev_b32_e32 v5, 16, v5
	v_sub_nc_u32_e32 v10, 0x3f1, v8
	v_sub_nc_u32_e32 v11, 0x3f1, v9
	s_wait_alu 0xfffd
	v_cndmask_b32_e64 v2, 0, 1, vcc_lo
	v_cmp_ne_u32_e32 vcc_lo, 0, v4
	v_add_nc_u32_e32 v9, 0xfffffc10, v9
	s_delay_alu instid0(VALU_DEP_3)
	v_and_or_b32 v12, 0xffe, v6, v2
	s_wait_alu 0xfffd
	v_cndmask_b32_e64 v4, 0, 1, vcc_lo
	v_med3_i32 v2, v10, 0, 13
	v_med3_i32 v10, v11, 0, 13
	v_or_b32_e32 v11, 0x1000, v12
	s_delay_alu instid0(VALU_DEP_4) | instskip(SKIP_1) | instid1(VALU_DEP_3)
	v_and_or_b32 v4, 0xffe, v7, v4
	v_mad_co_u64_u32 v[6:7], null, s4, v41, 0
	v_lshrrev_b32_e32 v14, v2, v11
	s_delay_alu instid0(VALU_DEP_3) | instskip(NEXT) | instid1(VALU_DEP_2)
	v_or_b32_e32 v13, 0x1000, v4
	v_lshlrev_b32_e32 v16, v2, v14
	s_delay_alu instid0(VALU_DEP_2) | instskip(SKIP_1) | instid1(VALU_DEP_3)
	v_lshrrev_b32_e32 v15, v10, v13
	v_mov_b32_e32 v2, v7
	v_cmp_ne_u32_e32 vcc_lo, v16, v11
	s_delay_alu instid0(VALU_DEP_3) | instskip(SKIP_3) | instid1(VALU_DEP_3)
	v_lshlrev_b32_e32 v7, v10, v15
	v_add_nc_u32_e32 v10, 0xfffffc10, v8
	s_wait_alu 0xfffd
	v_cndmask_b32_e64 v11, 0, 1, vcc_lo
	v_cmp_ne_u32_e32 vcc_lo, v7, v13
	v_mad_co_u64_u32 v[7:8], null, s5, v41, v[2:3]
	v_lshl_or_b32 v2, v10, 12, v12
	s_delay_alu instid0(VALU_DEP_4)
	v_or_b32_e32 v8, v14, v11
	s_wait_alu 0xfffd
	v_cndmask_b32_e64 v13, 0, 1, vcc_lo
	v_cmp_gt_i32_e32 vcc_lo, 1, v10
	v_lshl_or_b32 v11, v9, 12, v4
	v_lshrrev_b32_e32 v3, 16, v3
	s_delay_alu instid0(VALU_DEP_4)
	v_or_b32_e32 v13, v15, v13
	s_wait_alu 0xfffd
	v_cndmask_b32_e32 v2, v2, v8, vcc_lo
	v_cmp_gt_i32_e32 vcc_lo, 1, v9
	s_wait_alu 0xfffd
	v_cndmask_b32_e32 v8, v11, v13, vcc_lo
	v_cmp_ne_u32_e32 vcc_lo, 0, v12
	v_and_b32_e32 v12, 7, v2
	v_lshrrev_b32_e32 v2, 2, v2
	s_delay_alu instid0(VALU_DEP_4)
	v_and_b32_e32 v13, 7, v8
	s_wait_alu 0xfffd
	v_cndmask_b32_e64 v11, 0, 1, vcc_lo
	v_cmp_ne_u32_e32 vcc_lo, 0, v4
	v_cmp_eq_u32_e64 s0, 3, v12
	v_lshrrev_b32_e32 v8, 2, v8
	v_cmp_lt_i32_e64 s1, 5, v13
	v_cmp_eq_u32_e64 s2, 3, v13
	s_wait_alu 0xfffd
	v_cndmask_b32_e64 v4, 0, 1, vcc_lo
	v_cmp_lt_i32_e32 vcc_lo, 5, v12
	v_lshl_or_b32 v11, v11, 9, 0x7c00
	s_delay_alu instid0(VALU_DEP_3)
	v_lshl_or_b32 v4, v4, 9, 0x7c00
	s_or_b32 vcc_lo, s0, vcc_lo
	s_wait_alu 0xfffe
	v_add_co_ci_u32_e32 v2, vcc_lo, 0, v2, vcc_lo
	s_or_b32 vcc_lo, s2, s1
	s_wait_alu 0xfffe
	v_add_co_ci_u32_e32 v8, vcc_lo, 0, v8, vcc_lo
	v_cmp_gt_i32_e32 vcc_lo, 31, v10
	s_wait_alu 0xfffd
	v_cndmask_b32_e32 v2, 0x7c00, v2, vcc_lo
	v_cmp_gt_i32_e32 vcc_lo, 31, v9
	s_wait_alu 0xfffd
	v_cndmask_b32_e32 v8, 0x7c00, v8, vcc_lo
	v_cmp_eq_u32_e32 vcc_lo, 0x40f, v10
	s_wait_alu 0xfffd
	v_cndmask_b32_e32 v2, v2, v11, vcc_lo
	v_cmp_eq_u32_e32 vcc_lo, 0x40f, v9
	s_delay_alu instid0(VALU_DEP_2) | instskip(SKIP_2) | instid1(VALU_DEP_1)
	v_and_or_b32 v2, 0x8000, v3, v2
	s_wait_alu 0xfffd
	v_cndmask_b32_e32 v4, v8, v4, vcc_lo
	v_and_or_b32 v4, 0x8000, v5, v4
	s_delay_alu instid0(VALU_DEP_3) | instskip(SKIP_1) | instid1(VALU_DEP_2)
	v_and_b32_e32 v5, 0xffff, v2
	v_lshlrev_b64_e32 v[2:3], 2, v[6:7]
	v_lshl_or_b32 v4, v4, 16, v5
	s_delay_alu instid0(VALU_DEP_2) | instskip(SKIP_1) | instid1(VALU_DEP_3)
	v_add_co_u32 v0, vcc_lo, v0, v2
	s_wait_alu 0xfffd
	v_add_co_ci_u32_e32 v1, vcc_lo, v1, v3, vcc_lo
	global_store_b32 v[0:1], v4, off
.LBB0_23:
	s_nop 0
	s_sendmsg sendmsg(MSG_DEALLOC_VGPRS)
	s_endpgm
	.section	.rodata,"a",@progbits
	.p2align	6, 0x0
	.amdhsa_kernel bluestein_single_fwd_len952_dim1_half_op_CI_CI
		.amdhsa_group_segment_fixed_size 11424
		.amdhsa_private_segment_fixed_size 0
		.amdhsa_kernarg_size 104
		.amdhsa_user_sgpr_count 2
		.amdhsa_user_sgpr_dispatch_ptr 0
		.amdhsa_user_sgpr_queue_ptr 0
		.amdhsa_user_sgpr_kernarg_segment_ptr 1
		.amdhsa_user_sgpr_dispatch_id 0
		.amdhsa_user_sgpr_private_segment_size 0
		.amdhsa_wavefront_size32 1
		.amdhsa_uses_dynamic_stack 0
		.amdhsa_enable_private_segment 0
		.amdhsa_system_sgpr_workgroup_id_x 1
		.amdhsa_system_sgpr_workgroup_id_y 0
		.amdhsa_system_sgpr_workgroup_id_z 0
		.amdhsa_system_sgpr_workgroup_info 0
		.amdhsa_system_vgpr_workitem_id 0
		.amdhsa_next_free_vgpr 253
		.amdhsa_next_free_sgpr 16
		.amdhsa_reserve_vcc 1
		.amdhsa_float_round_mode_32 0
		.amdhsa_float_round_mode_16_64 0
		.amdhsa_float_denorm_mode_32 3
		.amdhsa_float_denorm_mode_16_64 3
		.amdhsa_fp16_overflow 0
		.amdhsa_workgroup_processor_mode 1
		.amdhsa_memory_ordered 1
		.amdhsa_forward_progress 0
		.amdhsa_round_robin_scheduling 0
		.amdhsa_exception_fp_ieee_invalid_op 0
		.amdhsa_exception_fp_denorm_src 0
		.amdhsa_exception_fp_ieee_div_zero 0
		.amdhsa_exception_fp_ieee_overflow 0
		.amdhsa_exception_fp_ieee_underflow 0
		.amdhsa_exception_fp_ieee_inexact 0
		.amdhsa_exception_int_div_zero 0
	.end_amdhsa_kernel
	.text
.Lfunc_end0:
	.size	bluestein_single_fwd_len952_dim1_half_op_CI_CI, .Lfunc_end0-bluestein_single_fwd_len952_dim1_half_op_CI_CI
                                        ; -- End function
	.section	.AMDGPU.csdata,"",@progbits
; Kernel info:
; codeLenInByte = 37480
; NumSgprs: 18
; NumVgprs: 253
; ScratchSize: 0
; MemoryBound: 0
; FloatMode: 240
; IeeeMode: 1
; LDSByteSize: 11424 bytes/workgroup (compile time only)
; SGPRBlocks: 2
; VGPRBlocks: 31
; NumSGPRsForWavesPerEU: 18
; NumVGPRsForWavesPerEU: 253
; Occupancy: 5
; WaveLimiterHint : 1
; COMPUTE_PGM_RSRC2:SCRATCH_EN: 0
; COMPUTE_PGM_RSRC2:USER_SGPR: 2
; COMPUTE_PGM_RSRC2:TRAP_HANDLER: 0
; COMPUTE_PGM_RSRC2:TGID_X_EN: 1
; COMPUTE_PGM_RSRC2:TGID_Y_EN: 0
; COMPUTE_PGM_RSRC2:TGID_Z_EN: 0
; COMPUTE_PGM_RSRC2:TIDIG_COMP_CNT: 0
	.text
	.p2alignl 7, 3214868480
	.fill 96, 4, 3214868480
	.type	__hip_cuid_f76ebbe92960c40c,@object ; @__hip_cuid_f76ebbe92960c40c
	.section	.bss,"aw",@nobits
	.globl	__hip_cuid_f76ebbe92960c40c
__hip_cuid_f76ebbe92960c40c:
	.byte	0                               ; 0x0
	.size	__hip_cuid_f76ebbe92960c40c, 1

	.ident	"AMD clang version 19.0.0git (https://github.com/RadeonOpenCompute/llvm-project roc-6.4.0 25133 c7fe45cf4b819c5991fe208aaa96edf142730f1d)"
	.section	".note.GNU-stack","",@progbits
	.addrsig
	.addrsig_sym __hip_cuid_f76ebbe92960c40c
	.amdgpu_metadata
---
amdhsa.kernels:
  - .args:
      - .actual_access:  read_only
        .address_space:  global
        .offset:         0
        .size:           8
        .value_kind:     global_buffer
      - .actual_access:  read_only
        .address_space:  global
        .offset:         8
        .size:           8
        .value_kind:     global_buffer
      - .actual_access:  read_only
        .address_space:  global
        .offset:         16
        .size:           8
        .value_kind:     global_buffer
      - .actual_access:  read_only
        .address_space:  global
        .offset:         24
        .size:           8
        .value_kind:     global_buffer
      - .actual_access:  read_only
        .address_space:  global
        .offset:         32
        .size:           8
        .value_kind:     global_buffer
      - .offset:         40
        .size:           8
        .value_kind:     by_value
      - .address_space:  global
        .offset:         48
        .size:           8
        .value_kind:     global_buffer
      - .address_space:  global
        .offset:         56
        .size:           8
        .value_kind:     global_buffer
      - .address_space:  global
        .offset:         64
        .size:           8
        .value_kind:     global_buffer
      - .address_space:  global
        .offset:         72
        .size:           8
        .value_kind:     global_buffer
      - .offset:         80
        .size:           4
        .value_kind:     by_value
      - .address_space:  global
        .offset:         88
        .size:           8
        .value_kind:     global_buffer
      - .address_space:  global
        .offset:         96
        .size:           8
        .value_kind:     global_buffer
    .group_segment_fixed_size: 11424
    .kernarg_segment_align: 8
    .kernarg_segment_size: 104
    .language:       OpenCL C
    .language_version:
      - 2
      - 0
    .max_flat_workgroup_size: 204
    .name:           bluestein_single_fwd_len952_dim1_half_op_CI_CI
    .private_segment_fixed_size: 0
    .sgpr_count:     18
    .sgpr_spill_count: 0
    .symbol:         bluestein_single_fwd_len952_dim1_half_op_CI_CI.kd
    .uniform_work_group_size: 1
    .uses_dynamic_stack: false
    .vgpr_count:     253
    .vgpr_spill_count: 0
    .wavefront_size: 32
    .workgroup_processor_mode: 1
amdhsa.target:   amdgcn-amd-amdhsa--gfx1201
amdhsa.version:
  - 1
  - 2
...

	.end_amdgpu_metadata
